;; amdgpu-corpus repo=tuanlda78202/gpt-oss-amd kind=compiled arch=gfx90a opt=O3
	.text
	.amdgcn_target "amdgcn-amd-amdhsa--gfx90a"
	.amdhsa_code_object_version 6
	.protected	_Z27moe_mlp1_swiglu_mfma_kernelPKiiiPKfPfPK14__hip_bfloat16S6_iixxff ; -- Begin function _Z27moe_mlp1_swiglu_mfma_kernelPKiiiPKfPfPK14__hip_bfloat16S6_iixxff
	.globl	_Z27moe_mlp1_swiglu_mfma_kernelPKiiiPKfPfPK14__hip_bfloat16S6_iixxff
	.p2align	8
	.type	_Z27moe_mlp1_swiglu_mfma_kernelPKiiiPKfPfPK14__hip_bfloat16S6_iixxff,@function
_Z27moe_mlp1_swiglu_mfma_kernelPKiiiPKfPfPK14__hip_bfloat16S6_iixxff: ; @_Z27moe_mlp1_swiglu_mfma_kernelPKiiiPKfPfPK14__hip_bfloat16S6_iixxff
; %bb.0:
	s_load_dwordx2 s[0:1], s[4:5], 0x8
	s_waitcnt lgkmcnt(0)
	s_cmp_ge_i32 s8, s1
	s_cbranch_scc1 .LBB0_135
; %bb.1:
	s_load_dwordx2 s[2:3], s[4:5], 0x0
	s_load_dwordx2 s[24:25], s[4:5], 0x30
	s_add_i32 s0, s8, s0
	s_mul_i32 s0, s0, 3
	s_ashr_i32 s1, s0, 31
	s_lshl_b64 s[0:1], s[0:1], 2
	s_waitcnt lgkmcnt(0)
	s_add_u32 s2, s2, s0
	s_addc_u32 s3, s3, s1
	s_load_dwordx2 s[26:27], s[2:3], 0x4
	s_cmp_eq_u32 s25, 0
	s_cselect_b64 s[0:1], -1, 0
	s_waitcnt lgkmcnt(0)
	s_cmp_eq_u32 s27, 0
	s_cselect_b64 s[8:9], -1, 0
	s_or_b64 s[0:1], s[0:1], s[8:9]
	s_cmp_eq_u32 s24, 0
	s_cselect_b64 s[8:9], -1, 0
	s_or_b64 s[0:1], s[8:9], s[0:1]
	s_and_b64 vcc, exec, s[0:1]
	s_cbranch_vccnz .LBB0_135
; %bb.2:
	s_load_dword s34, s[2:3], 0x0
	s_load_dwordx2 s[0:1], s[4:5], 0x28
	s_load_dwordx4 s[16:19], s[4:5], 0x38
	s_mov_b64 s[10:11], 0
	s_waitcnt lgkmcnt(0)
	s_ashr_i32 s35, s34, 31
	s_cmp_eq_u64 s[0:1], 0
	s_cbranch_scc1 .LBB0_4
; %bb.3:
	s_mul_i32 s2, s34, s19
	s_mul_hi_u32 s3, s34, s18
	s_add_i32 s2, s3, s2
	s_mul_i32 s3, s35, s18
	s_add_i32 s3, s2, s3
	s_mul_i32 s2, s34, s18
	s_lshl_b64 s[2:3], s[2:3], 1
	s_add_u32 s10, s0, s2
	s_addc_u32 s11, s1, s3
.LBB0_4:
	s_lshl_b32 s28, s25, 1
	s_lshl_b32 s36, s7, 8
	s_cmp_lt_i32 s36, s28
	s_cselect_b64 s[0:1], -1, 0
	s_lshl_b32 s37, s6, 6
	s_cmp_lt_i32 s37, s27
	s_cselect_b64 s[2:3], -1, 0
	s_and_b64 s[0:1], s[0:1], s[2:3]
	s_andn2_b64 vcc, exec, s[0:1]
	s_cbranch_vccnz .LBB0_135
; %bb.5:
	v_lshrrev_b32_e32 v2, 2, v0
	v_and_b32_e32 v1, 0xf0, v2
	v_or_b32_e32 v8, s36, v1
	v_and_b32_e32 v44, 12, v2
	s_mov_b32 s0, 0
	v_or_b32_e32 v6, v8, v44
	s_cmp_lg_u64 s[10:11], 0
	s_mov_b32 s2, s0
	s_mov_b32 s3, s0
	s_cselect_b64 s[14:15], -1, 0
	v_cmp_gt_i32_e32 vcc, s28, v6
	s_mov_b32 s1, s0
	v_pk_mov_b32 v[4:5], s[2:3], s[2:3] op_sel:[0,1]
	s_and_b64 s[8:9], s[14:15], vcc
	v_pk_mov_b32 v[2:3], s[0:1], s[0:1] op_sel:[0,1]
	s_and_saveexec_b64 s[2:3], s[8:9]
	s_cbranch_execz .LBB0_7
; %bb.6:
	v_ashrrev_i32_e32 v7, 31, v6
	v_lshlrev_b64 v[2:3], 1, v[6:7]
	v_mov_b32_e32 v4, s11
	v_add_co_u32_e64 v2, s[0:1], s10, v2
	v_addc_co_u32_e64 v3, s[0:1], v4, v3, s[0:1]
	flat_load_ushort v2, v[2:3]
	v_mov_b32_e32 v3, 0
	v_mov_b32_e32 v4, v3
	;; [unrolled: 1-line block ×3, first 2 shown]
	s_waitcnt vmcnt(0) lgkmcnt(0)
	v_lshlrev_b32_e32 v2, 16, v2
.LBB0_7:
	s_or_b64 exec, exec, s[2:3]
	v_or_b32_e32 v7, 1, v6
	v_cmp_gt_i32_e64 s[12:13], s28, v7
	s_and_b64 s[0:1], s[14:15], s[12:13]
	s_and_saveexec_b64 s[2:3], s[0:1]
	s_cbranch_execz .LBB0_9
; %bb.8:
	v_ashrrev_i32_e32 v7, 31, v6
	v_lshlrev_b64 v[10:11], 1, v[6:7]
	v_mov_b32_e32 v3, s11
	v_add_co_u32_e64 v10, s[0:1], s10, v10
	v_addc_co_u32_e64 v11, s[0:1], v3, v11, s[0:1]
	flat_load_ushort v3, v[10:11] offset:2
	s_waitcnt vmcnt(0) lgkmcnt(0)
	v_lshlrev_b32_e32 v3, 16, v3
.LBB0_9:
	s_or_b64 exec, exec, s[2:3]
	v_or_b32_e32 v9, 2, v6
	v_cmp_gt_i32_e64 s[8:9], s28, v9
	s_and_b64 s[0:1], s[14:15], s[8:9]
	s_and_saveexec_b64 s[2:3], s[0:1]
	s_cbranch_execz .LBB0_11
; %bb.10:
	v_ashrrev_i32_e32 v7, 31, v6
	v_lshlrev_b64 v[10:11], 1, v[6:7]
	v_mov_b32_e32 v4, s11
	v_add_co_u32_e64 v10, s[0:1], s10, v10
	v_addc_co_u32_e64 v11, s[0:1], v4, v11, s[0:1]
	flat_load_ushort v4, v[10:11] offset:4
	s_waitcnt vmcnt(0) lgkmcnt(0)
	v_lshlrev_b32_e32 v4, 16, v4
.LBB0_11:
	s_or_b64 exec, exec, s[2:3]
	v_or_b32_e32 v10, 3, v6
	v_cmp_gt_i32_e64 s[2:3], s28, v10
	v_cmp_le_i32_e64 s[0:1], s28, v10
	s_and_b64 s[2:3], s[14:15], s[2:3]
	s_and_saveexec_b64 s[14:15], s[2:3]
	s_cbranch_execz .LBB0_13
; %bb.12:
	v_ashrrev_i32_e32 v7, 31, v6
	v_lshlrev_b64 v[12:13], 1, v[6:7]
	v_mov_b32_e32 v5, s11
	v_add_co_u32_e64 v12, s[2:3], s10, v12
	v_addc_co_u32_e64 v13, s[2:3], v5, v13, s[2:3]
	flat_load_ushort v5, v[12:13] offset:6
	s_waitcnt vmcnt(0) lgkmcnt(0)
	v_lshlrev_b32_e32 v5, 16, v5
.LBB0_13:
	s_or_b64 exec, exec, s[14:15]
	s_add_i32 s2, s27, 63
	s_ashr_i32 s3, s2, 31
	s_lshr_b32 s3, s3, 26
	s_add_i32 s2, s2, s3
	s_ashr_i32 s7, s2, 6
	s_cmp_lt_i32 s6, s7
	s_cbranch_scc0 .LBB0_135
; %bb.14:
	s_add_i32 s2, s24, 63
	s_ashr_i32 s3, s2, 31
	s_load_dwordx4 s[20:23], s[4:5], 0x10
	s_load_dwordx2 s[14:15], s[4:5], 0x20
	s_lshr_b32 s3, s3, 26
	s_add_i32 s2, s2, s3
	s_ashr_i32 s33, s2, 6
	s_mul_hi_i32 s3, s26, s24
	s_mul_i32 s2, s26, s24
	s_ashr_i32 s49, s26, 31
	s_ashr_i32 s38, s24, 31
	s_lshl_b64 s[2:3], s[2:3], 2
	v_lshlrev_b32_e32 v7, 2, v0
	s_waitcnt lgkmcnt(0)
	s_add_u32 s10, s20, s2
	v_and_b32_e32 v11, 60, v7
	s_addc_u32 s11, s21, s3
	v_lshlrev_b32_e32 v7, 2, v11
	v_mov_b32_e32 v12, s11
	v_add_co_u32_e64 v47, s[10:11], s10, v7
	v_and_b32_e32 v45, 15, v0
	s_mul_hi_i32 s3, s26, s25
	s_mul_i32 s2, s26, s25
	v_addc_co_u32_e64 v48, s[10:11], 0, v12, s[10:11]
	s_lshl_b64 s[2:3], s[2:3], 2
	v_lshrrev_b32_e32 v46, 4, v0
	s_movk_i32 s10, 0x44
	v_or_b32_e32 v7, v8, v45
	v_ashrrev_i32_e32 v6, 1, v6
	s_mov_b32 s48, s26
	s_add_u32 s26, s22, s2
	v_mad_u32_u24 v49, v46, s10, v11
	v_cmp_gt_i32_e64 s[10:11], s28, v7
	v_ashrrev_i32_e32 v7, 31, v6
	s_addc_u32 s41, s23, s3
	v_lshlrev_b64 v[26:27], 2, v[6:7]
	s_load_dwordx2 s[18:19], s[4:5], 0x48
	s_load_dword s42, s[4:5], 0x50
	v_mov_b32_e32 v7, s41
	v_add_co_u32_e64 v51, s[4:5], s26, v26
	s_cmp_gt_i32 s24, 0
	v_addc_co_u32_e64 v52, s[4:5], v7, v27, s[4:5]
	s_cselect_b64 s[22:23], -1, 0
	s_and_b64 s[12:13], vcc, s[12:13]
	v_cmp_gt_i32_e32 vcc, s25, v6
	v_cmp_gt_i32_e64 s[4:5], s28, v10
	v_ashrrev_i32_e32 v6, 1, v9
	v_lshlrev_b32_e32 v8, 4, v45
	s_and_b64 s[8:9], s[8:9], s[4:5]
	v_cmp_gt_i32_e64 s[4:5], s25, v6
	s_and_b64 s[28:29], s[12:13], vcc
	v_mov_b32_e32 v9, s21
	v_add_co_u32_e32 v8, vcc, s20, v8
	s_and_b64 s[30:31], s[8:9], s[4:5]
	v_addc_co_u32_e32 v9, vcc, 0, v9, vcc
	s_movk_i32 s4, 0x100
	v_add_co_u32_e32 v28, vcc, s4, v8
	s_mul_i32 s4, s16, s35
	s_mul_hi_u32 s5, s16, s34
	s_add_i32 s4, s5, s4
	s_mul_i32 s5, s17, s34
	v_add3_u32 v1, s36, v1, v45
	v_addc_co_u32_e32 v29, vcc, 0, v9, vcc
	s_add_i32 s5, s4, s5
	s_mul_i32 s4, s16, s34
	v_mad_i64_i32 v[8:9], s[8:9], s24, v1, 0
	s_lshl_b64 s[4:5], s[4:5], 1
	v_lshlrev_b64 v[8:9], 1, v[8:9]
	v_mov_b32_e32 v1, s5
	v_add_co_u32_e32 v8, vcc, s4, v8
	v_lshrrev_b32_e32 v0, 1, v0
	v_addc_co_u32_e32 v1, vcc, v1, v9, vcc
	v_and_b32_e32 v0, 24, v0
	v_add_co_u32_e32 v0, vcc, v8, v0
	v_addc_co_u32_e32 v1, vcc, 0, v1, vcc
	v_mov_b32_e32 v8, s15
	v_add_co_u32_e32 v0, vcc, s14, v0
	v_addc_co_u32_e32 v1, vcc, v1, v8, vcc
	s_movk_i32 s4, 0x64
	s_waitcnt lgkmcnt(0)
	s_xor_b32 s43, s19, 0x80000000
	s_max_i32 s46, s33, 1
	v_ashrrev_i32_e32 v7, 31, v6
	v_add_co_u32_e32 v0, vcc, s4, v0
	s_mov_b32 s39, s24
	s_mov_b32 s40, s25
	v_cmp_gt_i32_e64 s[2:3], s24, v11
	v_lshlrev_b32_e32 v50, 1, v49
	v_mul_u32_u24_e32 v53, 0x88, v45
	s_mov_b32 s25, s43
	s_mov_b32 s44, s19
	;; [unrolled: 1-line block ×3, first 2 shown]
	s_lshl_b32 s46, s46, 6
	s_lshl_b64 s[20:21], s[48:49], 2
	v_add_u32_e32 v30, s37, v46
	s_lshl_b32 s47, s42, 6
	v_or_b32_e32 v54, 64, v11
	v_addc_co_u32_e32 v1, vcc, 0, v1, vcc
	s_mov_b32 s48, 0x7f800000
	s_movk_i32 s49, 0x7fff
	s_mov_b32 s50, 0xffff
	s_mov_b32 s51, 0x7060302
	;; [unrolled: 1-line block ×3, first 2 shown]
	v_mov_b32_e32 v55, 0
	v_lshlrev_b64 v[32:33], 2, v[6:7]
	s_branch .LBB0_17
.LBB0_15:                               ;   in Loop: Header=BB0_17 Depth=1
	s_or_b64 exec, exec, s[8:9]
.LBB0_16:                               ;   in Loop: Header=BB0_17 Depth=1
	s_or_b64 exec, exec, s[4:5]
	s_add_i32 s6, s42, s6
	s_cmp_lt_i32 s6, s7
	v_add_u32_e32 v30, s47, v30
	s_barrier
	s_cbranch_scc0 .LBB0_135
.LBB0_17:                               ; =>This Loop Header: Depth=1
                                        ;     Child Loop BB0_39 Depth 2
	s_lshl_b32 s16, s6, 6
	v_or_b32_e32 v8, s16, v46
	v_cmp_gt_i32_e64 s[4:5], s27, v8
	s_and_b64 s[12:13], s[4:5], s[2:3]
	v_mov_b32_e32 v7, 0
	v_mov_b32_e32 v6, 0
	s_and_saveexec_b64 s[8:9], s[12:13]
	s_cbranch_execz .LBB0_35
; %bb.18:                               ;   in Loop: Header=BB0_17 Depth=1
	v_mad_i64_i32 v[6:7], s[12:13], v8, s39, 0
	v_lshlrev_b64 v[6:7], 2, v[6:7]
	v_add_co_u32_e32 v6, vcc, v47, v6
	v_addc_co_u32_e32 v7, vcc, v48, v7, vcc
	global_load_dwordx4 v[6:9], v[6:7], off
	s_waitcnt vmcnt(0)
	v_and_b32_e32 v10, 0x7f800000, v6
	v_cmp_ne_u32_e32 vcc, s48, v10
                                        ; implicit-def: $vgpr10
	s_and_saveexec_b64 s[12:13], vcc
	s_xor_b64 s[12:13], exec, s[12:13]
; %bb.19:                               ;   in Loop: Header=BB0_17 Depth=1
	v_bfe_u32 v10, v6, 16, 1
	v_add3_u32 v10, v6, v10, s49
; %bb.20:                               ;   in Loop: Header=BB0_17 Depth=1
	s_andn2_saveexec_b64 s[12:13], s[12:13]
; %bb.21:                               ;   in Loop: Header=BB0_17 Depth=1
	v_or_b32_e32 v10, 0x10000, v6
	v_cmp_eq_u32_sdwa vcc, v6, v55 src0_sel:WORD_0 src1_sel:DWORD
	v_cndmask_b32_e32 v10, v10, v6, vcc
; %bb.22:                               ;   in Loop: Header=BB0_17 Depth=1
	s_or_b64 exec, exec, s[12:13]
	v_and_b32_e32 v6, 0x7f800000, v7
	v_cmp_ne_u32_e32 vcc, s48, v6
                                        ; implicit-def: $vgpr11
	s_and_saveexec_b64 s[12:13], vcc
	s_xor_b64 s[12:13], exec, s[12:13]
; %bb.23:                               ;   in Loop: Header=BB0_17 Depth=1
	v_bfe_u32 v6, v7, 16, 1
	v_add3_u32 v11, v7, v6, s49
; %bb.24:                               ;   in Loop: Header=BB0_17 Depth=1
	s_andn2_saveexec_b64 s[12:13], s[12:13]
; %bb.25:                               ;   in Loop: Header=BB0_17 Depth=1
	v_or_b32_e32 v6, 0x10000, v7
	v_cmp_eq_u32_sdwa vcc, v7, v55 src0_sel:WORD_0 src1_sel:DWORD
	v_cndmask_b32_e32 v11, v6, v7, vcc
; %bb.26:                               ;   in Loop: Header=BB0_17 Depth=1
	s_or_b64 exec, exec, s[12:13]
	v_and_b32_e32 v6, 0x7f800000, v8
	v_cmp_ne_u32_e32 vcc, s48, v6
                                        ; implicit-def: $vgpr12
	s_and_saveexec_b64 s[12:13], vcc
	s_xor_b64 s[12:13], exec, s[12:13]
; %bb.27:                               ;   in Loop: Header=BB0_17 Depth=1
	v_bfe_u32 v6, v8, 16, 1
	v_add3_u32 v12, v8, v6, s49
; %bb.28:                               ;   in Loop: Header=BB0_17 Depth=1
	s_andn2_saveexec_b64 s[12:13], s[12:13]
; %bb.29:                               ;   in Loop: Header=BB0_17 Depth=1
	v_or_b32_e32 v6, 0x10000, v8
	v_cmp_eq_u32_sdwa vcc, v8, v55 src0_sel:WORD_0 src1_sel:DWORD
	v_cndmask_b32_e32 v12, v6, v8, vcc
; %bb.30:                               ;   in Loop: Header=BB0_17 Depth=1
	s_or_b64 exec, exec, s[12:13]
	v_and_b32_e32 v6, 0x7f800000, v9
	v_cmp_ne_u32_e32 vcc, s48, v6
                                        ; implicit-def: $vgpr13
	s_and_saveexec_b64 s[12:13], vcc
	s_xor_b64 s[12:13], exec, s[12:13]
; %bb.31:                               ;   in Loop: Header=BB0_17 Depth=1
	v_bfe_u32 v6, v9, 16, 1
	v_add3_u32 v13, v9, v6, s49
                                        ; implicit-def: $vgpr6_vgpr7_vgpr8_vgpr9
; %bb.32:                               ;   in Loop: Header=BB0_17 Depth=1
	s_andn2_saveexec_b64 s[12:13], s[12:13]
; %bb.33:                               ;   in Loop: Header=BB0_17 Depth=1
	v_or_b32_e32 v6, 0x10000, v9
	v_cmp_eq_u32_sdwa vcc, v9, v55 src0_sel:WORD_0 src1_sel:DWORD
	v_cndmask_b32_e32 v13, v6, v9, vcc
; %bb.34:                               ;   in Loop: Header=BB0_17 Depth=1
	s_or_b64 exec, exec, s[12:13]
	v_perm_b32 v6, v11, v10, s51
	v_perm_b32 v7, v13, v12, s51
.LBB0_35:                               ;   in Loop: Header=BB0_17 Depth=1
	s_or_b64 exec, exec, s[8:9]
	ds_write_b64 v50, v[6:7]
	v_pk_mov_b32 v[20:21], v[4:5], v[4:5] op_sel:[0,1]
	v_pk_mov_b32 v[16:17], v[4:5], v[4:5] op_sel:[0,1]
	;; [unrolled: 1-line block ×4, first 2 shown]
	s_andn2_b64 vcc, exec, s[22:23]
	v_pk_mov_b32 v[18:19], v[2:3], v[2:3] op_sel:[0,1]
	v_pk_mov_b32 v[14:15], v[2:3], v[2:3] op_sel:[0,1]
	;; [unrolled: 1-line block ×4, first 2 shown]
	s_waitcnt lgkmcnt(0)
	s_barrier
	s_cbranch_vccnz .LBB0_106
; %bb.36:                               ;   in Loop: Header=BB0_17 Depth=1
	v_ashrrev_i32_e32 v31, 31, v30
	v_lshlrev_b64 v[6:7], 2, v[30:31]
	v_mov_b32_e32 v8, s21
	v_add_co_u32_e32 v6, vcc, s20, v6
	v_addc_co_u32_e32 v7, vcc, v8, v7, vcc
	v_mul_lo_u32 v7, s39, v7
	v_mul_lo_u32 v8, s38, v6
	v_mad_u64_u32 v[34:35], s[8:9], s39, v6, v[28:29]
	v_add3_u32 v35, v8, v35, v7
	v_pk_mov_b32 v[20:21], v[4:5], v[4:5] op_sel:[0,1]
	v_pk_mov_b32 v[16:17], v[4:5], v[4:5] op_sel:[0,1]
	;; [unrolled: 1-line block ×4, first 2 shown]
	s_mov_b32 s17, 0
	s_mov_b32 s34, 1
	v_pk_mov_b32 v[36:37], v[0:1], v[0:1] op_sel:[0,1]
	v_pk_mov_b32 v[18:19], v[2:3], v[2:3] op_sel:[0,1]
	;; [unrolled: 1-line block ×5, first 2 shown]
	s_branch .LBB0_39
.LBB0_37:                               ;   in Loop: Header=BB0_39 Depth=2
	s_or_b64 exec, exec, s[12:13]
.LBB0_38:                               ;   in Loop: Header=BB0_39 Depth=2
	s_or_b64 exec, exec, s[8:9]
	s_nop 3
	ds_read2_b64 v[22:25], v56 offset0:8 offset1:12
	v_add_co_u32_e32 v34, vcc, 0x100, v34
	v_addc_co_u32_e32 v35, vcc, 0, v35, vcc
	s_waitcnt vmcnt(0) lgkmcnt(0)
	v_mfma_f32_16x16x16bf16_1k v[18:21], v[42:43], v[22:23], v[18:21]
	v_add_u32_e32 v22, 0x880, v56
	ds_read2_b64 v[58:61], v22 offset0:8 offset1:12
	v_add_u32_e32 v22, 0x1100, v56
	ds_read2_b64 v[62:65], v22 offset0:8 offset1:12
	v_add_u32_e32 v22, 0x1980, v56
	s_add_i32 s17, s17, 64
	s_add_i32 s34, s34, 1
	s_waitcnt lgkmcnt(1)
	v_mfma_f32_16x16x16bf16_1k v[14:17], v[42:43], v[58:59], v[14:17]
	ds_read2_b64 v[56:59], v22 offset0:8 offset1:12
	v_add_co_u32_e32 v36, vcc, 0x80, v36
	v_addc_co_u32_e32 v37, vcc, 0, v37, vcc
	s_cmp_eq_u32 s46, s17
	s_waitcnt lgkmcnt(0)
	v_mfma_f32_16x16x16bf16_1k v[6:9], v[42:43], v[62:63], v[6:9]
	s_barrier
	v_mfma_f32_16x16x16bf16_1k v[66:69], v[42:43], v[56:57], v[10:13]
	v_mfma_f32_16x16x16bf16_1k v[18:21], v[40:41], v[24:25], v[18:21]
	;; [unrolled: 1-line block ×5, first 2 shown]
	s_cbranch_scc1 .LBB0_106
.LBB0_39:                               ;   Parent Loop BB0_17 Depth=1
                                        ; =>  This Inner Loop Header: Depth=2
	s_add_i32 s8, s34, -1
	s_and_b32 s35, s8, 1
	s_cmp_ge_i32 s34, s33
	s_cbranch_scc1 .LBB0_59
; %bb.40:                               ;   in Loop: Header=BB0_39 Depth=2
	v_add_u32_e32 v22, s17, v54
	v_cmp_gt_i32_e32 vcc, s24, v22
	s_and_b64 s[12:13], s[4:5], vcc
	v_mov_b32_e32 v23, 0
	v_mov_b32_e32 v22, 0
	s_and_saveexec_b64 s[8:9], s[12:13]
	s_cbranch_execz .LBB0_58
; %bb.41:                               ;   in Loop: Header=BB0_39 Depth=2
	global_load_dwordx4 v[22:25], v[34:35], off
	s_waitcnt vmcnt(0)
	v_and_b32_e32 v31, 0x7f800000, v22
	v_cmp_ne_u32_e32 vcc, s48, v31
                                        ; implicit-def: $vgpr31
	s_and_saveexec_b64 s[12:13], vcc
	s_xor_b64 s[12:13], exec, s[12:13]
; %bb.42:                               ;   in Loop: Header=BB0_39 Depth=2
	v_bfe_u32 v31, v22, 16, 1
	v_add3_u32 v31, v22, v31, s49
; %bb.43:                               ;   in Loop: Header=BB0_39 Depth=2
	s_andn2_saveexec_b64 s[12:13], s[12:13]
; %bb.44:                               ;   in Loop: Header=BB0_39 Depth=2
	v_or_b32_e32 v31, 0x10000, v22
	v_cmp_eq_u32_sdwa vcc, v22, v55 src0_sel:WORD_0 src1_sel:DWORD
	v_cndmask_b32_e32 v31, v31, v22, vcc
; %bb.45:                               ;   in Loop: Header=BB0_39 Depth=2
	s_or_b64 exec, exec, s[12:13]
	v_and_b32_e32 v22, 0x7f800000, v23
	v_cmp_ne_u32_e32 vcc, s48, v22
                                        ; implicit-def: $vgpr38
	s_and_saveexec_b64 s[12:13], vcc
	s_xor_b64 s[12:13], exec, s[12:13]
; %bb.46:                               ;   in Loop: Header=BB0_39 Depth=2
	v_bfe_u32 v22, v23, 16, 1
	v_add3_u32 v38, v23, v22, s49
; %bb.47:                               ;   in Loop: Header=BB0_39 Depth=2
	s_andn2_saveexec_b64 s[12:13], s[12:13]
; %bb.48:                               ;   in Loop: Header=BB0_39 Depth=2
	v_or_b32_e32 v22, 0x10000, v23
	v_cmp_eq_u32_sdwa vcc, v23, v55 src0_sel:WORD_0 src1_sel:DWORD
	v_cndmask_b32_e32 v38, v22, v23, vcc
; %bb.49:                               ;   in Loop: Header=BB0_39 Depth=2
	s_or_b64 exec, exec, s[12:13]
	v_and_b32_e32 v22, 0x7f800000, v24
	v_cmp_ne_u32_e32 vcc, s48, v22
                                        ; implicit-def: $vgpr39
	s_and_saveexec_b64 s[12:13], vcc
	s_xor_b64 s[12:13], exec, s[12:13]
; %bb.50:                               ;   in Loop: Header=BB0_39 Depth=2
	v_bfe_u32 v22, v24, 16, 1
	v_add3_u32 v39, v24, v22, s49
; %bb.51:                               ;   in Loop: Header=BB0_39 Depth=2
	s_andn2_saveexec_b64 s[12:13], s[12:13]
; %bb.52:                               ;   in Loop: Header=BB0_39 Depth=2
	v_or_b32_e32 v22, 0x10000, v24
	v_cmp_eq_u32_sdwa vcc, v24, v55 src0_sel:WORD_0 src1_sel:DWORD
	v_cndmask_b32_e32 v39, v22, v24, vcc
; %bb.53:                               ;   in Loop: Header=BB0_39 Depth=2
	s_or_b64 exec, exec, s[12:13]
	v_and_b32_e32 v22, 0x7f800000, v25
	v_cmp_ne_u32_e32 vcc, s48, v22
                                        ; implicit-def: $vgpr40
	s_and_saveexec_b64 s[12:13], vcc
	s_xor_b64 s[12:13], exec, s[12:13]
; %bb.54:                               ;   in Loop: Header=BB0_39 Depth=2
	v_bfe_u32 v22, v25, 16, 1
	v_add3_u32 v40, v25, v22, s49
                                        ; implicit-def: $vgpr22_vgpr23_vgpr24_vgpr25
; %bb.55:                               ;   in Loop: Header=BB0_39 Depth=2
	s_andn2_saveexec_b64 s[12:13], s[12:13]
; %bb.56:                               ;   in Loop: Header=BB0_39 Depth=2
	v_or_b32_e32 v22, 0x10000, v25
	v_cmp_eq_u32_sdwa vcc, v25, v55 src0_sel:WORD_0 src1_sel:DWORD
	v_cndmask_b32_e32 v40, v22, v25, vcc
; %bb.57:                               ;   in Loop: Header=BB0_39 Depth=2
	s_or_b64 exec, exec, s[12:13]
	v_perm_b32 v22, v38, v31, s51
	v_perm_b32 v23, v40, v39, s51
.LBB0_58:                               ;   in Loop: Header=BB0_39 Depth=2
	s_or_b64 exec, exec, s[8:9]
	s_xor_b32 s8, s35, 1
	s_mulk_i32 s8, 0x2200
	v_lshl_add_u32 v24, v49, 1, s8
	ds_write_b64 v24, v[22:23]
.LBB0_59:                               ;   in Loop: Header=BB0_39 Depth=2
	v_mov_b32_e32 v38, 0
	v_add_u32_e32 v31, s17, v44
	v_mov_b32_e32 v22, 0
	v_mov_b32_e32 v23, 0
	s_and_saveexec_b64 s[8:9], s[10:11]
	s_cbranch_execz .LBB0_71
; %bb.60:                               ;   in Loop: Header=BB0_39 Depth=2
	v_add_u32_e32 v22, 3, v31
	v_cmp_le_i32_e32 vcc, s24, v22
                                        ; implicit-def: $vgpr23
	s_and_saveexec_b64 s[12:13], vcc
	s_xor_b64 s[12:13], exec, s[12:13]
	s_cbranch_execz .LBB0_68
; %bb.61:                               ;   in Loop: Header=BB0_39 Depth=2
	v_cmp_gt_i32_e32 vcc, s24, v31
	v_mov_b32_e32 v23, 0
	v_mov_b32_e32 v22, 0
	s_and_saveexec_b64 s[14:15], vcc
	s_cbranch_execz .LBB0_63
; %bb.62:                               ;   in Loop: Header=BB0_39 Depth=2
	global_load_ushort v22, v[36:37], off offset:-100
	s_waitcnt vmcnt(0)
	v_and_b32_e32 v22, 0xffff, v22
.LBB0_63:                               ;   in Loop: Header=BB0_39 Depth=2
	s_or_b64 exec, exec, s[14:15]
	v_add_u32_e32 v24, 1, v31
	v_cmp_gt_i32_e32 vcc, s24, v24
	s_and_saveexec_b64 s[14:15], vcc
	s_cbranch_execz .LBB0_65
; %bb.64:                               ;   in Loop: Header=BB0_39 Depth=2
	global_load_ushort v24, v[36:37], off offset:-98
	s_waitcnt vmcnt(0)
	v_perm_b32 v22, v24, v22, s52
.LBB0_65:                               ;   in Loop: Header=BB0_39 Depth=2
	s_or_b64 exec, exec, s[14:15]
	v_add_u32_e32 v24, 2, v31
	v_cmp_gt_i32_e32 vcc, s24, v24
	s_and_saveexec_b64 s[14:15], vcc
	s_cbranch_execz .LBB0_67
; %bb.66:                               ;   in Loop: Header=BB0_39 Depth=2
	global_load_ushort v24, v[36:37], off offset:-96
	s_waitcnt vmcnt(0)
	v_bfi_b32 v23, s50, v24, v23
.LBB0_67:                               ;   in Loop: Header=BB0_39 Depth=2
	s_or_b64 exec, exec, s[14:15]
.LBB0_68:                               ;   in Loop: Header=BB0_39 Depth=2
	s_andn2_saveexec_b64 s[12:13], s[12:13]
	s_cbranch_execz .LBB0_70
; %bb.69:                               ;   in Loop: Header=BB0_39 Depth=2
	global_load_dwordx2 v[22:23], v[36:37], off offset:-100
.LBB0_70:                               ;   in Loop: Header=BB0_39 Depth=2
	s_or_b64 exec, exec, s[12:13]
.LBB0_71:                               ;   in Loop: Header=BB0_39 Depth=2
	s_or_b64 exec, exec, s[8:9]
	v_mov_b32_e32 v39, 0
	s_and_saveexec_b64 s[8:9], s[10:11]
	s_cbranch_execz .LBB0_83
; %bb.72:                               ;   in Loop: Header=BB0_39 Depth=2
	v_add_u32_e32 v24, 19, v31
	v_cmp_le_i32_e32 vcc, s24, v24
                                        ; implicit-def: $vgpr39
	s_and_saveexec_b64 s[12:13], vcc
	s_xor_b64 s[12:13], exec, s[12:13]
	s_cbranch_execz .LBB0_80
; %bb.73:                               ;   in Loop: Header=BB0_39 Depth=2
	v_add_u32_e32 v24, 16, v31
	v_cmp_gt_i32_e32 vcc, s24, v24
	v_mov_b32_e32 v39, 0
	v_mov_b32_e32 v38, 0
	s_and_saveexec_b64 s[14:15], vcc
	s_cbranch_execz .LBB0_75
; %bb.74:                               ;   in Loop: Header=BB0_39 Depth=2
	global_load_ushort v24, v[36:37], off offset:-68
	s_waitcnt vmcnt(0)
	v_and_b32_e32 v38, 0xffff, v24
.LBB0_75:                               ;   in Loop: Header=BB0_39 Depth=2
	s_or_b64 exec, exec, s[14:15]
	v_add_u32_e32 v24, 17, v31
	v_cmp_gt_i32_e32 vcc, s24, v24
	s_and_saveexec_b64 s[14:15], vcc
	s_cbranch_execz .LBB0_77
; %bb.76:                               ;   in Loop: Header=BB0_39 Depth=2
	global_load_ushort v24, v[36:37], off offset:-66
	s_waitcnt vmcnt(0)
	v_perm_b32 v38, v24, v38, s52
.LBB0_77:                               ;   in Loop: Header=BB0_39 Depth=2
	s_or_b64 exec, exec, s[14:15]
	v_add_u32_e32 v24, 18, v31
	v_cmp_gt_i32_e32 vcc, s24, v24
	s_and_saveexec_b64 s[14:15], vcc
	s_cbranch_execz .LBB0_79
; %bb.78:                               ;   in Loop: Header=BB0_39 Depth=2
	global_load_ushort v24, v[36:37], off offset:-64
	s_waitcnt vmcnt(0)
	v_bfi_b32 v39, s50, v24, v39
.LBB0_79:                               ;   in Loop: Header=BB0_39 Depth=2
	s_or_b64 exec, exec, s[14:15]
.LBB0_80:                               ;   in Loop: Header=BB0_39 Depth=2
	s_andn2_saveexec_b64 s[12:13], s[12:13]
	s_cbranch_execz .LBB0_82
; %bb.81:                               ;   in Loop: Header=BB0_39 Depth=2
	global_load_dwordx2 v[38:39], v[36:37], off offset:-68
.LBB0_82:                               ;   in Loop: Header=BB0_39 Depth=2
	s_or_b64 exec, exec, s[12:13]
.LBB0_83:                               ;   in Loop: Header=BB0_39 Depth=2
	s_or_b64 exec, exec, s[8:9]
	s_mulk_i32 s35, 0x2200
	v_add_u32_e32 v24, s35, v53
	v_lshl_add_u32 v56, v44, 1, v24
	ds_read_b64 v[24:25], v56
	ds_read_b64 v[40:41], v56 offset:2176
	ds_read_b64 v[42:43], v56 offset:4352
	;; [unrolled: 1-line block ×3, first 2 shown]
	s_waitcnt vmcnt(0) lgkmcnt(3)
	v_mfma_f32_16x16x16bf16_1k v[18:21], v[22:23], v[24:25], v[18:21]
	s_waitcnt lgkmcnt(2)
	v_mfma_f32_16x16x16bf16_1k v[14:17], v[22:23], v[40:41], v[14:17]
	v_mov_b32_e32 v40, 0
	s_waitcnt lgkmcnt(1)
	v_mfma_f32_16x16x16bf16_1k v[10:13], v[22:23], v[42:43], v[10:13]
	v_mov_b32_e32 v42, 0
	v_mov_b32_e32 v43, 0
	s_waitcnt lgkmcnt(0)
	v_mfma_f32_16x16x16bf16_1k v[22:25], v[22:23], v[58:59], v[6:9]
	s_and_saveexec_b64 s[8:9], s[10:11]
	s_cbranch_execz .LBB0_95
; %bb.84:                               ;   in Loop: Header=BB0_39 Depth=2
	s_nop 4
	v_add_u32_e32 v6, 35, v31
	v_cmp_le_i32_e32 vcc, s24, v6
                                        ; implicit-def: $vgpr43
	s_and_saveexec_b64 s[12:13], vcc
	s_xor_b64 s[12:13], exec, s[12:13]
	s_cbranch_execz .LBB0_92
; %bb.85:                               ;   in Loop: Header=BB0_39 Depth=2
	v_add_u32_e32 v6, 32, v31
	v_cmp_gt_i32_e32 vcc, s24, v6
	v_mov_b32_e32 v43, 0
	v_mov_b32_e32 v42, 0
	s_and_saveexec_b64 s[14:15], vcc
	s_cbranch_execz .LBB0_87
; %bb.86:                               ;   in Loop: Header=BB0_39 Depth=2
	global_load_ushort v6, v[36:37], off offset:-36
	s_waitcnt vmcnt(0)
	v_and_b32_e32 v42, 0xffff, v6
.LBB0_87:                               ;   in Loop: Header=BB0_39 Depth=2
	s_or_b64 exec, exec, s[14:15]
	v_add_u32_e32 v6, 33, v31
	v_cmp_gt_i32_e32 vcc, s24, v6
	s_and_saveexec_b64 s[14:15], vcc
	s_cbranch_execz .LBB0_89
; %bb.88:                               ;   in Loop: Header=BB0_39 Depth=2
	global_load_ushort v6, v[36:37], off offset:-34
	s_waitcnt vmcnt(0)
	v_perm_b32 v42, v6, v42, s52
.LBB0_89:                               ;   in Loop: Header=BB0_39 Depth=2
	s_or_b64 exec, exec, s[14:15]
	v_add_u32_e32 v6, 34, v31
	v_cmp_gt_i32_e32 vcc, s24, v6
	s_and_saveexec_b64 s[14:15], vcc
	s_cbranch_execz .LBB0_91
; %bb.90:                               ;   in Loop: Header=BB0_39 Depth=2
	global_load_ushort v6, v[36:37], off offset:-32
	s_waitcnt vmcnt(0)
	v_bfi_b32 v43, s50, v6, v43
.LBB0_91:                               ;   in Loop: Header=BB0_39 Depth=2
	s_or_b64 exec, exec, s[14:15]
.LBB0_92:                               ;   in Loop: Header=BB0_39 Depth=2
	s_andn2_saveexec_b64 s[12:13], s[12:13]
	s_cbranch_execz .LBB0_94
; %bb.93:                               ;   in Loop: Header=BB0_39 Depth=2
	global_load_dwordx2 v[42:43], v[36:37], off offset:-36
.LBB0_94:                               ;   in Loop: Header=BB0_39 Depth=2
	s_or_b64 exec, exec, s[12:13]
.LBB0_95:                               ;   in Loop: Header=BB0_39 Depth=2
	s_or_b64 exec, exec, s[8:9]
	s_nop 3
	ds_read_b64 v[6:7], v56 offset:32
	ds_read_b64 v[8:9], v56 offset:2208
	;; [unrolled: 1-line block ×4, first 2 shown]
	v_mov_b32_e32 v41, 0
	s_waitcnt lgkmcnt(3)
	v_mfma_f32_16x16x16bf16_1k v[18:21], v[38:39], v[6:7], v[18:21]
	s_waitcnt lgkmcnt(2)
	v_mfma_f32_16x16x16bf16_1k v[14:17], v[38:39], v[8:9], v[14:17]
	;; [unrolled: 2-line block ×4, first 2 shown]
	s_and_saveexec_b64 s[8:9], s[10:11]
	s_cbranch_execz .LBB0_38
; %bb.96:                               ;   in Loop: Header=BB0_39 Depth=2
	s_nop 4
	v_add_u32_e32 v22, 51, v31
	v_cmp_le_i32_e32 vcc, s24, v22
                                        ; implicit-def: $vgpr41
	s_and_saveexec_b64 s[12:13], vcc
	s_xor_b64 s[12:13], exec, s[12:13]
	s_cbranch_execz .LBB0_104
; %bb.97:                               ;   in Loop: Header=BB0_39 Depth=2
	v_add_u32_e32 v22, 48, v31
	v_cmp_gt_i32_e32 vcc, s24, v22
	v_mov_b32_e32 v41, 0
	v_mov_b32_e32 v40, 0
	s_and_saveexec_b64 s[14:15], vcc
	s_cbranch_execz .LBB0_99
; %bb.98:                               ;   in Loop: Header=BB0_39 Depth=2
	global_load_ushort v22, v[36:37], off offset:-4
	s_waitcnt vmcnt(0)
	v_and_b32_e32 v40, 0xffff, v22
.LBB0_99:                               ;   in Loop: Header=BB0_39 Depth=2
	s_or_b64 exec, exec, s[14:15]
	v_add_u32_e32 v22, 49, v31
	v_cmp_gt_i32_e32 vcc, s24, v22
	s_and_saveexec_b64 s[14:15], vcc
	s_cbranch_execz .LBB0_101
; %bb.100:                              ;   in Loop: Header=BB0_39 Depth=2
	global_load_ushort v22, v[36:37], off offset:-2
	s_waitcnt vmcnt(0)
	v_perm_b32 v40, v22, v40, s52
.LBB0_101:                              ;   in Loop: Header=BB0_39 Depth=2
	s_or_b64 exec, exec, s[14:15]
	v_add_u32_e32 v22, 50, v31
	v_cmp_gt_i32_e32 vcc, s24, v22
	s_and_saveexec_b64 s[14:15], vcc
	s_cbranch_execz .LBB0_103
; %bb.102:                              ;   in Loop: Header=BB0_39 Depth=2
	global_load_ushort v22, v[36:37], off
	s_waitcnt vmcnt(0)
	v_bfi_b32 v41, s50, v22, v41
.LBB0_103:                              ;   in Loop: Header=BB0_39 Depth=2
	s_or_b64 exec, exec, s[14:15]
.LBB0_104:                              ;   in Loop: Header=BB0_39 Depth=2
	s_andn2_saveexec_b64 s[12:13], s[12:13]
	s_cbranch_execz .LBB0_37
; %bb.105:                              ;   in Loop: Header=BB0_39 Depth=2
	global_load_dwordx2 v[40:41], v[36:37], off offset:-4
	s_branch .LBB0_37
.LBB0_106:                              ;   in Loop: Header=BB0_17 Depth=1
	v_or_b32_e32 v25, s16, v45
	v_or_b32_e32 v24, 16, v25
	v_or_b32_e32 v23, 32, v25
	v_or_b32_e32 v22, 48, v25
	s_and_saveexec_b64 s[4:5], s[0:1]
	s_xor_b64 s[16:17], exec, s[4:5]
	s_cbranch_execz .LBB0_120
; %bb.107:                              ;   in Loop: Header=BB0_17 Depth=1
	v_mad_i64_i32 v[34:35], s[4:5], v25, s40, 0
	v_lshlrev_b64 v[36:37], 2, v[34:35]
	v_cmp_gt_i32_e64 s[12:13], s27, v25
	v_mov_b32_e32 v38, s41
	v_add_co_u32_e32 v35, vcc, s26, v36
	v_cmp_gt_i32_e64 s[4:5], s27, v24
	v_mad_i64_i32 v[24:25], s[8:9], v24, s40, 0
	v_addc_co_u32_e32 v36, vcc, v38, v37, vcc
	v_lshlrev_b64 v[24:25], 2, v[24:25]
	v_add_co_u32_e32 v31, vcc, s26, v24
	v_addc_co_u32_e32 v34, vcc, v38, v25, vcc
	v_mad_i64_i32 v[24:25], s[14:15], v23, s40, 0
	v_lshlrev_b64 v[24:25], 2, v[24:25]
	v_cmp_gt_i32_e64 s[8:9], s27, v23
	v_add_co_u32_e32 v24, vcc, s26, v24
	v_cmp_gt_i32_e64 s[14:15], s27, v22
	v_mad_i64_i32 v[22:23], s[34:35], v22, s40, 0
	v_addc_co_u32_e32 v25, vcc, v38, v25, vcc
	v_lshlrev_b64 v[22:23], 2, v[22:23]
	v_add_co_u32_e32 v22, vcc, s26, v22
	v_addc_co_u32_e32 v23, vcc, v38, v23, vcc
	s_and_saveexec_b64 s[34:35], s[28:29]
	s_cbranch_execz .LBB0_113
; %bb.108:                              ;   in Loop: Header=BB0_17 Depth=1
	s_and_saveexec_b64 s[36:37], s[12:13]
	s_cbranch_execnz .LBB0_129
; %bb.109:                              ;   in Loop: Header=BB0_17 Depth=1
	s_or_b64 exec, exec, s[36:37]
	s_and_saveexec_b64 s[36:37], s[4:5]
	s_cbranch_execnz .LBB0_130
.LBB0_110:                              ;   in Loop: Header=BB0_17 Depth=1
	s_or_b64 exec, exec, s[36:37]
	s_and_saveexec_b64 s[36:37], s[8:9]
	s_cbranch_execnz .LBB0_131
.LBB0_111:                              ;   in Loop: Header=BB0_17 Depth=1
	s_or_b64 exec, exec, s[36:37]
	s_and_b64 exec, exec, s[14:15]
	s_cbranch_execz .LBB0_113
.LBB0_112:                              ;   in Loop: Header=BB0_17 Depth=1
	v_max_f32_e32 v6, v6, v6
	v_max_f32_e64 v14, s19, s19
	v_min_f32_e32 v6, v6, v14
	v_mul_f32_e32 v10, s18, v6
	v_mul_f32_e32 v10, 0xbfb8aa3b, v10
	v_exp_f32_e32 v15, v10
	v_max_f32_e64 v18, -s19, -s19
	v_max_f32_e32 v7, v7, v7
	v_add_co_u32_e32 v10, vcc, v22, v26
	v_add_f32_e32 v15, 1.0, v15
	v_div_scale_f32 v19, s[36:37], v15, v15, 1.0
	v_rcp_f32_e32 v37, v19
	v_max_f32_e32 v7, v7, v18
	v_addc_co_u32_e32 v11, vcc, v23, v27, vcc
	v_min_f32_e32 v7, v7, v14
	v_fma_f32 v14, -v19, v37, 1.0
	v_fmac_f32_e32 v37, v14, v37
	v_div_scale_f32 v14, vcc, 1.0, v15, 1.0
	v_mul_f32_e32 v18, v14, v37
	v_fma_f32 v38, -v19, v18, v14
	v_fmac_f32_e32 v18, v38, v37
	v_fma_f32 v14, -v19, v18, v14
	v_div_fmas_f32 v14, v14, v37, v18
	v_div_fixup_f32 v14, v14, v15, 1.0
	v_mul_f32_e32 v6, v6, v14
	v_add_f32_e32 v7, 1.0, v7
	v_mul_f32_e32 v6, v7, v6
	global_store_dword v[10:11], v6, off glc slc
.LBB0_113:                              ;   in Loop: Header=BB0_17 Depth=1
	s_or_b64 exec, exec, s[34:35]
	s_and_saveexec_b64 s[34:35], s[30:31]
	s_cbranch_execz .LBB0_119
; %bb.114:                              ;   in Loop: Header=BB0_17 Depth=1
	v_max_f32_e64 v6, s19, s19
	v_max_f32_e64 v7, -s19, -s19
	s_and_saveexec_b64 s[36:37], s[12:13]
	s_cbranch_execnz .LBB0_132
; %bb.115:                              ;   in Loop: Header=BB0_17 Depth=1
	s_or_b64 exec, exec, s[36:37]
	s_and_saveexec_b64 s[12:13], s[4:5]
	s_cbranch_execnz .LBB0_133
.LBB0_116:                              ;   in Loop: Header=BB0_17 Depth=1
	s_or_b64 exec, exec, s[12:13]
	s_and_saveexec_b64 s[4:5], s[8:9]
	s_cbranch_execnz .LBB0_134
.LBB0_117:                              ;   in Loop: Header=BB0_17 Depth=1
	s_or_b64 exec, exec, s[4:5]
	s_and_b64 exec, exec, s[14:15]
	s_cbranch_execz .LBB0_119
.LBB0_118:                              ;   in Loop: Header=BB0_17 Depth=1
	v_max_f32_e32 v8, v8, v8
	v_min_f32_e32 v8, v8, v6
	v_mul_f32_e32 v10, s18, v8
	v_mul_f32_e32 v10, 0xbfb8aa3b, v10
	v_exp_f32_e32 v12, v10
	v_max_f32_e32 v9, v9, v9
	v_add_co_u32_e32 v10, vcc, v22, v32
	v_add_f32_e32 v12, 1.0, v12
	v_div_scale_f32 v13, s[4:5], v12, v12, 1.0
	v_rcp_f32_e32 v14, v13
	v_max_f32_e32 v7, v9, v7
	v_addc_co_u32_e32 v11, vcc, v23, v33, vcc
	v_min_f32_e32 v6, v7, v6
	v_fma_f32 v7, -v13, v14, 1.0
	v_fmac_f32_e32 v14, v7, v14
	v_div_scale_f32 v7, vcc, 1.0, v12, 1.0
	v_mul_f32_e32 v9, v7, v14
	v_fma_f32 v15, -v13, v9, v7
	v_fmac_f32_e32 v9, v15, v14
	v_fma_f32 v7, -v13, v9, v7
	v_div_fmas_f32 v7, v7, v14, v9
	v_div_fixup_f32 v7, v7, v12, 1.0
	v_mul_f32_e32 v7, v8, v7
	v_add_f32_e32 v6, 1.0, v6
	v_mul_f32_e32 v6, v6, v7
	global_store_dword v[10:11], v6, off glc slc
.LBB0_119:                              ;   in Loop: Header=BB0_17 Depth=1
	s_or_b64 exec, exec, s[34:35]
                                        ; implicit-def: $vgpr22
                                        ; implicit-def: $vgpr6_vgpr7_vgpr8_vgpr9
                                        ; implicit-def: $vgpr23
                                        ; implicit-def: $vgpr10_vgpr11_vgpr12_vgpr13
                                        ; implicit-def: $vgpr24
                                        ; implicit-def: $vgpr14_vgpr15_vgpr16_vgpr17
                                        ; implicit-def: $vgpr25
                                        ; implicit-def: $vgpr18_vgpr19_vgpr20_vgpr21
.LBB0_120:                              ;   in Loop: Header=BB0_17 Depth=1
	s_andn2_saveexec_b64 s[4:5], s[16:17]
	s_cbranch_execz .LBB0_16
; %bb.121:                              ;   in Loop: Header=BB0_17 Depth=1
	v_cmp_gt_i32_e32 vcc, s27, v25
	s_and_saveexec_b64 s[8:9], vcc
	s_cbranch_execnz .LBB0_125
; %bb.122:                              ;   in Loop: Header=BB0_17 Depth=1
	s_or_b64 exec, exec, s[8:9]
	v_cmp_gt_i32_e32 vcc, s27, v24
	s_and_saveexec_b64 s[8:9], vcc
	s_cbranch_execnz .LBB0_126
.LBB0_123:                              ;   in Loop: Header=BB0_17 Depth=1
	s_or_b64 exec, exec, s[8:9]
	v_cmp_gt_i32_e32 vcc, s27, v23
	s_and_saveexec_b64 s[8:9], vcc
	s_cbranch_execnz .LBB0_127
.LBB0_124:                              ;   in Loop: Header=BB0_17 Depth=1
	s_or_b64 exec, exec, s[8:9]
	v_cmp_gt_i32_e32 vcc, s27, v22
	s_and_saveexec_b64 s[8:9], vcc
	s_cbranch_execz .LBB0_15
	s_branch .LBB0_128
.LBB0_125:                              ;   in Loop: Header=BB0_17 Depth=1
	v_max_f32_e32 v20, v20, v20
	v_max_f32_e64 v31, s45, s45
	v_min_f32_e32 v35, v20, v31
	v_max_f32_e32 v18, v18, v18
	v_max_f32_e64 v20, s44, s44
	v_min_f32_e32 v34, v18, v20
	v_mul_f32_e64 v18, v35, -s18
	v_mul_f32_e32 v18, 0x3fb8aa3b, v18
	v_exp_f32_e32 v37, v18
	v_max_f32_e64 v18, s43, s43
	v_max_f32_e32 v19, v19, v19
	v_max_f32_e32 v38, v19, v18
	v_mul_f32_e64 v18, v34, -s18
	v_mul_f32_e32 v18, 0x3fb8aa3b, v18
	v_exp_f32_e32 v36, v18
	v_max_f32_e64 v18, s25, s25
	v_max_f32_e32 v19, v21, v21
	v_max_f32_e32 v21, v19, v18
	v_pk_add_f32 v[18:19], v[36:37], 1.0 op_sel_hi:[1,0]
	v_div_scale_f32 v36, s[12:13], v19, v19, 1.0
	v_rcp_f32_e32 v37, v36
	v_min_f32_e32 v21, v21, v31
	v_min_f32_e32 v20, v38, v20
	v_pk_add_f32 v[20:21], v[20:21], 1.0 op_sel_hi:[1,0]
	v_fma_f32 v31, -v36, v37, 1.0
	v_fmac_f32_e32 v37, v31, v37
	v_div_scale_f32 v31, vcc, 1.0, v19, 1.0
	v_mul_f32_e32 v38, v31, v37
	v_fma_f32 v39, -v36, v38, v31
	v_fmac_f32_e32 v38, v39, v37
	v_fma_f32 v31, -v36, v38, v31
	v_div_scale_f32 v36, s[12:13], v18, v18, 1.0
	v_rcp_f32_e32 v39, v36
	v_div_fmas_f32 v31, v31, v37, v38
	v_div_fixup_f32 v19, v31, v19, 1.0
	v_fma_f32 v31, -v36, v39, 1.0
	v_fmac_f32_e32 v39, v31, v39
	v_div_scale_f32 v31, vcc, 1.0, v18, 1.0
	v_mul_f32_e32 v37, v31, v39
	v_fma_f32 v38, -v36, v37, v31
	v_fmac_f32_e32 v37, v38, v39
	v_fma_f32 v31, -v36, v37, v31
	v_div_fmas_f32 v31, v31, v39, v37
	v_div_fixup_f32 v18, v31, v18, 1.0
	v_pk_mul_f32 v[18:19], v[34:35], v[18:19]
	v_pk_mul_f32 v[18:19], v[20:21], v[18:19]
	v_mad_i64_i32 v[20:21], s[12:13], v25, s40, 0
	v_lshlrev_b64 v[20:21], 2, v[20:21]
	v_add_co_u32_e32 v20, vcc, v51, v20
	v_addc_co_u32_e32 v21, vcc, v52, v21, vcc
	global_store_dwordx2 v[20:21], v[18:19], off
	s_or_b64 exec, exec, s[8:9]
	v_cmp_gt_i32_e32 vcc, s27, v24
	s_and_saveexec_b64 s[8:9], vcc
	s_cbranch_execz .LBB0_123
.LBB0_126:                              ;   in Loop: Header=BB0_17 Depth=1
	v_max_f32_e32 v16, v16, v16
	v_max_f32_e64 v20, s45, s45
	v_min_f32_e32 v19, v16, v20
	v_max_f32_e32 v14, v14, v14
	v_max_f32_e64 v16, s44, s44
	v_min_f32_e32 v18, v14, v16
	v_mul_f32_e64 v14, v18, -s18
	v_max_f32_e32 v25, v15, v15
	v_mul_f32_e64 v15, v19, -s18
	v_mul_f32_e32 v14, 0x3fb8aa3b, v14
	v_mul_f32_e32 v15, 0x3fb8aa3b, v15
	v_exp_f32_e32 v14, v14
	v_exp_f32_e32 v15, v15
	v_max_f32_e64 v21, s43, s43
	v_max_f32_e32 v21, v25, v21
	v_max_f32_e64 v25, s25, s25
	v_pk_add_f32 v[14:15], v[14:15], 1.0 op_sel_hi:[1,0]
	v_div_scale_f32 v31, s[12:13], v15, v15, 1.0
	v_rcp_f32_e32 v34, v31
	v_max_f32_e32 v17, v17, v17
	v_max_f32_e32 v17, v17, v25
	v_min_f32_e32 v17, v17, v20
	v_fma_f32 v20, -v31, v34, 1.0
	v_fmac_f32_e32 v34, v20, v34
	v_div_scale_f32 v20, vcc, 1.0, v15, 1.0
	v_min_f32_e32 v16, v21, v16
	v_mul_f32_e32 v21, v20, v34
	v_fma_f32 v25, -v31, v21, v20
	v_fmac_f32_e32 v21, v25, v34
	v_div_scale_f32 v25, s[12:13], v14, v14, 1.0
	v_fma_f32 v20, -v31, v21, v20
	v_rcp_f32_e32 v31, v25
	v_div_fmas_f32 v20, v20, v34, v21
	v_div_fixup_f32 v15, v20, v15, 1.0
	v_pk_add_f32 v[16:17], v[16:17], 1.0 op_sel_hi:[1,0]
	v_fma_f32 v20, -v25, v31, 1.0
	v_fmac_f32_e32 v31, v20, v31
	v_div_scale_f32 v20, vcc, 1.0, v14, 1.0
	v_mul_f32_e32 v21, v20, v31
	v_fma_f32 v34, -v25, v21, v20
	v_fmac_f32_e32 v21, v34, v31
	v_fma_f32 v20, -v25, v21, v20
	v_div_fmas_f32 v20, v20, v31, v21
	v_div_fixup_f32 v14, v20, v14, 1.0
	v_pk_mul_f32 v[14:15], v[18:19], v[14:15]
	v_pk_mul_f32 v[14:15], v[16:17], v[14:15]
	v_mad_i64_i32 v[16:17], s[12:13], v24, s40, 0
	v_lshlrev_b64 v[16:17], 2, v[16:17]
	v_add_co_u32_e32 v16, vcc, v51, v16
	v_addc_co_u32_e32 v17, vcc, v52, v17, vcc
	global_store_dwordx2 v[16:17], v[14:15], off
	s_or_b64 exec, exec, s[8:9]
	v_cmp_gt_i32_e32 vcc, s27, v23
	s_and_saveexec_b64 s[8:9], vcc
	s_cbranch_execz .LBB0_124
.LBB0_127:                              ;   in Loop: Header=BB0_17 Depth=1
	v_max_f32_e32 v12, v12, v12
	v_max_f32_e64 v16, s45, s45
	v_min_f32_e32 v15, v12, v16
	v_max_f32_e32 v10, v10, v10
	v_max_f32_e64 v12, s44, s44
	v_min_f32_e32 v14, v10, v12
	v_mul_f32_e64 v10, v14, -s18
	v_max_f32_e32 v18, v11, v11
	v_mul_f32_e64 v11, v15, -s18
	v_mul_f32_e32 v10, 0x3fb8aa3b, v10
	v_mul_f32_e32 v11, 0x3fb8aa3b, v11
	v_exp_f32_e32 v10, v10
	v_exp_f32_e32 v11, v11
	v_max_f32_e64 v17, s43, s43
	v_max_f32_e32 v17, v18, v17
	v_max_f32_e64 v18, s25, s25
	v_pk_add_f32 v[10:11], v[10:11], 1.0 op_sel_hi:[1,0]
	v_div_scale_f32 v19, s[12:13], v11, v11, 1.0
	v_rcp_f32_e32 v20, v19
	v_max_f32_e32 v13, v13, v13
	v_max_f32_e32 v13, v13, v18
	v_min_f32_e32 v13, v13, v16
	v_fma_f32 v16, -v19, v20, 1.0
	v_fmac_f32_e32 v20, v16, v20
	v_div_scale_f32 v16, vcc, 1.0, v11, 1.0
	v_min_f32_e32 v12, v17, v12
	v_mul_f32_e32 v17, v16, v20
	v_fma_f32 v18, -v19, v17, v16
	v_fmac_f32_e32 v17, v18, v20
	v_div_scale_f32 v18, s[12:13], v10, v10, 1.0
	v_fma_f32 v16, -v19, v17, v16
	v_rcp_f32_e32 v19, v18
	v_div_fmas_f32 v16, v16, v20, v17
	v_div_fixup_f32 v11, v16, v11, 1.0
	v_pk_add_f32 v[12:13], v[12:13], 1.0 op_sel_hi:[1,0]
	v_fma_f32 v16, -v18, v19, 1.0
	v_fmac_f32_e32 v19, v16, v19
	v_div_scale_f32 v16, vcc, 1.0, v10, 1.0
	v_mul_f32_e32 v17, v16, v19
	v_fma_f32 v20, -v18, v17, v16
	v_fmac_f32_e32 v17, v20, v19
	v_fma_f32 v16, -v18, v17, v16
	v_div_fmas_f32 v16, v16, v19, v17
	v_div_fixup_f32 v10, v16, v10, 1.0
	v_pk_mul_f32 v[10:11], v[14:15], v[10:11]
	v_pk_mul_f32 v[10:11], v[12:13], v[10:11]
	v_mad_i64_i32 v[12:13], s[12:13], v23, s40, 0
	v_lshlrev_b64 v[12:13], 2, v[12:13]
	v_add_co_u32_e32 v12, vcc, v51, v12
	v_addc_co_u32_e32 v13, vcc, v52, v13, vcc
	global_store_dwordx2 v[12:13], v[10:11], off
	s_or_b64 exec, exec, s[8:9]
	v_cmp_gt_i32_e32 vcc, s27, v22
	s_and_saveexec_b64 s[8:9], vcc
	s_cbranch_execz .LBB0_15
.LBB0_128:                              ;   in Loop: Header=BB0_17 Depth=1
	v_max_f32_e32 v8, v8, v8
	v_max_f32_e64 v12, s45, s45
	v_min_f32_e32 v11, v8, v12
	v_max_f32_e32 v6, v6, v6
	v_max_f32_e64 v8, s44, s44
	v_min_f32_e32 v10, v6, v8
	v_mul_f32_e64 v6, v10, -s18
	v_max_f32_e32 v14, v7, v7
	v_mul_f32_e64 v7, v11, -s18
	v_mul_f32_e32 v6, 0x3fb8aa3b, v6
	v_mul_f32_e32 v7, 0x3fb8aa3b, v7
	v_exp_f32_e32 v6, v6
	v_exp_f32_e32 v7, v7
	v_max_f32_e64 v13, s43, s43
	v_max_f32_e32 v13, v14, v13
	v_max_f32_e64 v14, s25, s25
	v_pk_add_f32 v[6:7], v[6:7], 1.0 op_sel_hi:[1,0]
	v_div_scale_f32 v15, s[12:13], v7, v7, 1.0
	v_rcp_f32_e32 v16, v15
	v_max_f32_e32 v9, v9, v9
	v_max_f32_e32 v9, v9, v14
	v_min_f32_e32 v9, v9, v12
	v_fma_f32 v12, -v15, v16, 1.0
	v_fmac_f32_e32 v16, v12, v16
	v_div_scale_f32 v12, vcc, 1.0, v7, 1.0
	v_min_f32_e32 v8, v13, v8
	v_mul_f32_e32 v13, v12, v16
	v_fma_f32 v14, -v15, v13, v12
	v_fmac_f32_e32 v13, v14, v16
	v_div_scale_f32 v14, s[12:13], v6, v6, 1.0
	v_fma_f32 v12, -v15, v13, v12
	v_rcp_f32_e32 v15, v14
	v_div_fmas_f32 v12, v12, v16, v13
	v_div_fixup_f32 v7, v12, v7, 1.0
	v_pk_add_f32 v[8:9], v[8:9], 1.0 op_sel_hi:[1,0]
	v_fma_f32 v12, -v14, v15, 1.0
	v_fmac_f32_e32 v15, v12, v15
	v_div_scale_f32 v12, vcc, 1.0, v6, 1.0
	v_mul_f32_e32 v13, v12, v15
	v_fma_f32 v16, -v14, v13, v12
	v_fmac_f32_e32 v13, v16, v15
	v_fma_f32 v12, -v14, v13, v12
	v_div_fmas_f32 v12, v12, v15, v13
	v_div_fixup_f32 v6, v12, v6, 1.0
	v_pk_mul_f32 v[6:7], v[10:11], v[6:7]
	v_pk_mul_f32 v[6:7], v[8:9], v[6:7]
	v_mad_i64_i32 v[8:9], s[12:13], v22, s40, 0
	v_lshlrev_b64 v[8:9], 2, v[8:9]
	v_add_co_u32_e32 v8, vcc, v51, v8
	v_addc_co_u32_e32 v9, vcc, v52, v9, vcc
	global_store_dwordx2 v[8:9], v[6:7], off
	s_branch .LBB0_15
.LBB0_129:                              ;   in Loop: Header=BB0_17 Depth=1
	v_max_f32_e32 v18, v18, v18
	v_max_f32_e64 v37, s19, s19
	v_min_f32_e32 v18, v18, v37
	v_mul_f32_e32 v38, s18, v18
	v_mul_f32_e32 v38, 0xbfb8aa3b, v38
	v_exp_f32_e32 v40, v38
	v_max_f32_e64 v41, -s19, -s19
	v_max_f32_e32 v19, v19, v19
	v_add_co_u32_e32 v38, vcc, v35, v26
	v_add_f32_e32 v40, 1.0, v40
	v_div_scale_f32 v42, s[54:55], v40, v40, 1.0
	v_rcp_f32_e32 v43, v42
	v_max_f32_e32 v19, v19, v41
	v_addc_co_u32_e32 v39, vcc, v36, v27, vcc
	v_min_f32_e32 v19, v19, v37
	v_fma_f32 v37, -v42, v43, 1.0
	v_fmac_f32_e32 v43, v37, v43
	v_div_scale_f32 v37, vcc, 1.0, v40, 1.0
	v_mul_f32_e32 v41, v37, v43
	v_fma_f32 v56, -v42, v41, v37
	v_fmac_f32_e32 v41, v56, v43
	v_fma_f32 v37, -v42, v41, v37
	v_div_fmas_f32 v37, v37, v43, v41
	v_div_fixup_f32 v37, v37, v40, 1.0
	v_mul_f32_e32 v18, v18, v37
	v_add_f32_e32 v19, 1.0, v19
	v_mul_f32_e32 v18, v19, v18
	global_store_dword v[38:39], v18, off glc slc
	s_or_b64 exec, exec, s[36:37]
	s_and_saveexec_b64 s[36:37], s[4:5]
	s_cbranch_execz .LBB0_110
.LBB0_130:                              ;   in Loop: Header=BB0_17 Depth=1
	v_max_f32_e32 v14, v14, v14
	v_max_f32_e64 v37, s19, s19
	v_min_f32_e32 v14, v14, v37
	v_mul_f32_e32 v18, s18, v14
	v_mul_f32_e32 v18, 0xbfb8aa3b, v18
	v_exp_f32_e32 v38, v18
	v_max_f32_e64 v39, -s19, -s19
	v_max_f32_e32 v15, v15, v15
	v_add_co_u32_e32 v18, vcc, v31, v26
	v_add_f32_e32 v38, 1.0, v38
	v_div_scale_f32 v40, s[54:55], v38, v38, 1.0
	v_rcp_f32_e32 v41, v40
	v_max_f32_e32 v15, v15, v39
	v_addc_co_u32_e32 v19, vcc, v34, v27, vcc
	v_min_f32_e32 v15, v15, v37
	v_fma_f32 v37, -v40, v41, 1.0
	v_fmac_f32_e32 v41, v37, v41
	v_div_scale_f32 v37, vcc, 1.0, v38, 1.0
	v_mul_f32_e32 v39, v37, v41
	v_fma_f32 v42, -v40, v39, v37
	v_fmac_f32_e32 v39, v42, v41
	v_fma_f32 v37, -v40, v39, v37
	v_div_fmas_f32 v37, v37, v41, v39
	v_div_fixup_f32 v37, v37, v38, 1.0
	v_mul_f32_e32 v14, v14, v37
	v_add_f32_e32 v15, 1.0, v15
	v_mul_f32_e32 v14, v15, v14
	global_store_dword v[18:19], v14, off glc slc
	s_or_b64 exec, exec, s[36:37]
	s_and_saveexec_b64 s[36:37], s[8:9]
	s_cbranch_execz .LBB0_111
.LBB0_131:                              ;   in Loop: Header=BB0_17 Depth=1
	v_max_f32_e32 v10, v10, v10
	v_max_f32_e64 v18, s19, s19
	v_min_f32_e32 v10, v10, v18
	v_mul_f32_e32 v14, s18, v10
	v_mul_f32_e32 v14, 0xbfb8aa3b, v14
	v_exp_f32_e32 v19, v14
	v_max_f32_e64 v37, -s19, -s19
	v_max_f32_e32 v11, v11, v11
	v_add_co_u32_e32 v14, vcc, v24, v26
	v_add_f32_e32 v19, 1.0, v19
	v_div_scale_f32 v38, s[54:55], v19, v19, 1.0
	v_rcp_f32_e32 v39, v38
	v_max_f32_e32 v11, v11, v37
	v_addc_co_u32_e32 v15, vcc, v25, v27, vcc
	v_min_f32_e32 v11, v11, v18
	v_fma_f32 v18, -v38, v39, 1.0
	v_fmac_f32_e32 v39, v18, v39
	v_div_scale_f32 v18, vcc, 1.0, v19, 1.0
	v_mul_f32_e32 v37, v18, v39
	v_fma_f32 v40, -v38, v37, v18
	v_fmac_f32_e32 v37, v40, v39
	v_fma_f32 v18, -v38, v37, v18
	v_div_fmas_f32 v18, v18, v39, v37
	v_div_fixup_f32 v18, v18, v19, 1.0
	v_mul_f32_e32 v10, v10, v18
	v_add_f32_e32 v11, 1.0, v11
	v_mul_f32_e32 v10, v11, v10
	global_store_dword v[14:15], v10, off glc slc
	s_or_b64 exec, exec, s[36:37]
	s_and_b64 exec, exec, s[14:15]
	s_cbranch_execnz .LBB0_112
	s_branch .LBB0_113
.LBB0_132:                              ;   in Loop: Header=BB0_17 Depth=1
	v_max_f32_e32 v10, v20, v20
	v_min_f32_e32 v14, v10, v6
	v_mul_f32_e32 v10, s18, v14
	v_mul_f32_e32 v10, 0xbfb8aa3b, v10
	v_exp_f32_e32 v15, v10
	v_add_co_u32_e32 v10, vcc, v35, v32
	v_addc_co_u32_e32 v11, vcc, v36, v33, vcc
	v_add_f32_e32 v15, 1.0, v15
	v_div_scale_f32 v18, s[12:13], v15, v15, 1.0
	v_rcp_f32_e32 v19, v18
	v_max_f32_e32 v20, v21, v21
	v_max_f32_e32 v20, v20, v7
	v_min_f32_e32 v20, v20, v6
	v_fma_f32 v21, -v18, v19, 1.0
	v_fmac_f32_e32 v19, v21, v19
	v_div_scale_f32 v21, vcc, 1.0, v15, 1.0
	v_mul_f32_e32 v35, v21, v19
	v_fma_f32 v36, -v18, v35, v21
	v_fmac_f32_e32 v35, v36, v19
	v_fma_f32 v18, -v18, v35, v21
	v_div_fmas_f32 v18, v18, v19, v35
	v_div_fixup_f32 v15, v18, v15, 1.0
	v_mul_f32_e32 v14, v14, v15
	v_add_f32_e32 v15, 1.0, v20
	v_mul_f32_e32 v14, v15, v14
	global_store_dword v[10:11], v14, off glc slc
	s_or_b64 exec, exec, s[36:37]
	s_and_saveexec_b64 s[12:13], s[4:5]
	s_cbranch_execz .LBB0_116
.LBB0_133:                              ;   in Loop: Header=BB0_17 Depth=1
	v_max_f32_e32 v10, v16, v16
	v_min_f32_e32 v14, v10, v6
	v_mul_f32_e32 v10, s18, v14
	v_mul_f32_e32 v10, 0xbfb8aa3b, v10
	v_exp_f32_e32 v15, v10
	v_add_co_u32_e32 v10, vcc, v31, v32
	v_addc_co_u32_e32 v11, vcc, v34, v33, vcc
	v_add_f32_e32 v15, 1.0, v15
	v_div_scale_f32 v16, s[4:5], v15, v15, 1.0
	v_rcp_f32_e32 v18, v16
	v_max_f32_e32 v17, v17, v17
	v_max_f32_e32 v17, v17, v7
	v_min_f32_e32 v17, v17, v6
	v_fma_f32 v19, -v16, v18, 1.0
	v_fmac_f32_e32 v18, v19, v18
	v_div_scale_f32 v19, vcc, 1.0, v15, 1.0
	v_mul_f32_e32 v20, v19, v18
	v_fma_f32 v21, -v16, v20, v19
	v_fmac_f32_e32 v20, v21, v18
	v_fma_f32 v16, -v16, v20, v19
	v_div_fmas_f32 v16, v16, v18, v20
	v_div_fixup_f32 v15, v16, v15, 1.0
	v_mul_f32_e32 v14, v14, v15
	v_add_f32_e32 v15, 1.0, v17
	v_mul_f32_e32 v14, v15, v14
	global_store_dword v[10:11], v14, off glc slc
	s_or_b64 exec, exec, s[12:13]
	s_and_saveexec_b64 s[4:5], s[8:9]
	s_cbranch_execz .LBB0_117
.LBB0_134:                              ;   in Loop: Header=BB0_17 Depth=1
	v_max_f32_e32 v10, v12, v12
	v_min_f32_e32 v12, v10, v6
	v_mul_f32_e32 v10, s18, v12
	v_mul_f32_e32 v10, 0xbfb8aa3b, v10
	v_exp_f32_e32 v14, v10
	v_add_co_u32_e32 v10, vcc, v24, v32
	v_addc_co_u32_e32 v11, vcc, v25, v33, vcc
	v_add_f32_e32 v14, 1.0, v14
	v_div_scale_f32 v15, s[8:9], v14, v14, 1.0
	v_rcp_f32_e32 v16, v15
	v_max_f32_e32 v13, v13, v13
	v_max_f32_e32 v13, v13, v7
	v_min_f32_e32 v13, v13, v6
	v_fma_f32 v17, -v15, v16, 1.0
	v_fmac_f32_e32 v16, v17, v16
	v_div_scale_f32 v17, vcc, 1.0, v14, 1.0
	v_mul_f32_e32 v18, v17, v16
	v_fma_f32 v19, -v15, v18, v17
	v_fmac_f32_e32 v18, v19, v16
	v_fma_f32 v15, -v15, v18, v17
	v_div_fmas_f32 v15, v15, v16, v18
	v_div_fixup_f32 v14, v15, v14, 1.0
	v_mul_f32_e32 v12, v12, v14
	v_add_f32_e32 v13, 1.0, v13
	v_mul_f32_e32 v12, v13, v12
	global_store_dword v[10:11], v12, off glc slc
	s_or_b64 exec, exec, s[4:5]
	s_and_b64 exec, exec, s[14:15]
	s_cbranch_execnz .LBB0_118
	s_branch .LBB0_119
.LBB0_135:
	s_endpgm
	.section	.rodata,"a",@progbits
	.p2align	6, 0x0
	.amdhsa_kernel _Z27moe_mlp1_swiglu_mfma_kernelPKiiiPKfPfPK14__hip_bfloat16S6_iixxff
		.amdhsa_group_segment_fixed_size 17408
		.amdhsa_private_segment_fixed_size 0
		.amdhsa_kernarg_size 336
		.amdhsa_user_sgpr_count 6
		.amdhsa_user_sgpr_private_segment_buffer 1
		.amdhsa_user_sgpr_dispatch_ptr 0
		.amdhsa_user_sgpr_queue_ptr 0
		.amdhsa_user_sgpr_kernarg_segment_ptr 1
		.amdhsa_user_sgpr_dispatch_id 0
		.amdhsa_user_sgpr_flat_scratch_init 0
		.amdhsa_user_sgpr_kernarg_preload_length 0
		.amdhsa_user_sgpr_kernarg_preload_offset 0
		.amdhsa_user_sgpr_private_segment_size 0
		.amdhsa_uses_dynamic_stack 0
		.amdhsa_system_sgpr_private_segment_wavefront_offset 0
		.amdhsa_system_sgpr_workgroup_id_x 1
		.amdhsa_system_sgpr_workgroup_id_y 1
		.amdhsa_system_sgpr_workgroup_id_z 1
		.amdhsa_system_sgpr_workgroup_info 0
		.amdhsa_system_vgpr_workitem_id 0
		.amdhsa_next_free_vgpr 70
		.amdhsa_next_free_sgpr 56
		.amdhsa_accum_offset 72
		.amdhsa_reserve_vcc 1
		.amdhsa_reserve_flat_scratch 0
		.amdhsa_float_round_mode_32 0
		.amdhsa_float_round_mode_16_64 0
		.amdhsa_float_denorm_mode_32 3
		.amdhsa_float_denorm_mode_16_64 3
		.amdhsa_dx10_clamp 1
		.amdhsa_ieee_mode 1
		.amdhsa_fp16_overflow 0
		.amdhsa_tg_split 0
		.amdhsa_exception_fp_ieee_invalid_op 0
		.amdhsa_exception_fp_denorm_src 0
		.amdhsa_exception_fp_ieee_div_zero 0
		.amdhsa_exception_fp_ieee_overflow 0
		.amdhsa_exception_fp_ieee_underflow 0
		.amdhsa_exception_fp_ieee_inexact 0
		.amdhsa_exception_int_div_zero 0
	.end_amdhsa_kernel
	.text
.Lfunc_end0:
	.size	_Z27moe_mlp1_swiglu_mfma_kernelPKiiiPKfPfPK14__hip_bfloat16S6_iixxff, .Lfunc_end0-_Z27moe_mlp1_swiglu_mfma_kernelPKiiiPKfPfPK14__hip_bfloat16S6_iixxff
                                        ; -- End function
	.section	.AMDGPU.csdata,"",@progbits
; Kernel info:
; codeLenInByte = 6208
; NumSgprs: 60
; NumVgprs: 70
; NumAgprs: 0
; TotalNumVgprs: 70
; ScratchSize: 0
; MemoryBound: 0
; FloatMode: 240
; IeeeMode: 1
; LDSByteSize: 17408 bytes/workgroup (compile time only)
; SGPRBlocks: 7
; VGPRBlocks: 8
; NumSGPRsForWavesPerEU: 60
; NumVGPRsForWavesPerEU: 70
; AccumOffset: 72
; Occupancy: 7
; WaveLimiterHint : 1
; COMPUTE_PGM_RSRC2:SCRATCH_EN: 0
; COMPUTE_PGM_RSRC2:USER_SGPR: 6
; COMPUTE_PGM_RSRC2:TRAP_HANDLER: 0
; COMPUTE_PGM_RSRC2:TGID_X_EN: 1
; COMPUTE_PGM_RSRC2:TGID_Y_EN: 1
; COMPUTE_PGM_RSRC2:TGID_Z_EN: 1
; COMPUTE_PGM_RSRC2:TIDIG_COMP_CNT: 0
; COMPUTE_PGM_RSRC3_GFX90A:ACCUM_OFFSET: 17
; COMPUTE_PGM_RSRC3_GFX90A:TG_SPLIT: 0
	.text
	.protected	_Z28moe_mlp2_scatter_mfma_kernelPKiiiPKfS0_S2_PfPK14__hip_bfloat16S6_iixx ; -- Begin function _Z28moe_mlp2_scatter_mfma_kernelPKiiiPKfS0_S2_PfPK14__hip_bfloat16S6_iixx
	.globl	_Z28moe_mlp2_scatter_mfma_kernelPKiiiPKfS0_S2_PfPK14__hip_bfloat16S6_iixx
	.p2align	8
	.type	_Z28moe_mlp2_scatter_mfma_kernelPKiiiPKfS0_S2_PfPK14__hip_bfloat16S6_iixx,@function
_Z28moe_mlp2_scatter_mfma_kernelPKiiiPKfS0_S2_PfPK14__hip_bfloat16S6_iixx: ; @_Z28moe_mlp2_scatter_mfma_kernelPKiiiPKfS0_S2_PfPK14__hip_bfloat16S6_iixx
; %bb.0:
	s_load_dwordx2 s[0:1], s[4:5], 0x8
	s_waitcnt lgkmcnt(0)
	s_cmp_ge_i32 s8, s1
	s_cbranch_scc1 .LBB1_192
; %bb.1:
	s_load_dwordx2 s[2:3], s[4:5], 0x0
	s_load_dwordx2 s[22:23], s[4:5], 0x40
	s_add_i32 s0, s8, s0
	s_mul_i32 s0, s0, 3
	s_ashr_i32 s1, s0, 31
	s_lshl_b64 s[0:1], s[0:1], 2
	s_waitcnt lgkmcnt(0)
	s_add_u32 s2, s2, s0
	s_addc_u32 s3, s3, s1
	s_load_dwordx2 s[34:35], s[2:3], 0x4
	s_cmp_eq_u32 s23, 0
	s_cselect_b64 s[0:1], -1, 0
	s_waitcnt lgkmcnt(0)
	s_cmp_eq_u32 s35, 0
	s_cselect_b64 s[8:9], -1, 0
	s_or_b64 s[0:1], s[0:1], s[8:9]
	s_cmp_eq_u32 s22, 0
	s_cselect_b64 s[8:9], -1, 0
	s_or_b64 s[0:1], s[8:9], s[0:1]
	s_and_b64 vcc, exec, s[0:1]
	s_cbranch_vccnz .LBB1_192
; %bb.2:
	s_load_dword s16, s[2:3], 0x0
	s_load_dwordx2 s[0:1], s[4:5], 0x38
	s_load_dwordx4 s[12:15], s[4:5], 0x48
	s_mov_b64 s[8:9], 0
	s_waitcnt lgkmcnt(0)
	s_ashr_i32 s17, s16, 31
	s_cmp_eq_u64 s[0:1], 0
	s_cbranch_scc1 .LBB1_4
; %bb.3:
	s_mul_i32 s2, s16, s15
	s_mul_hi_u32 s3, s16, s14
	s_add_i32 s2, s3, s2
	s_mul_i32 s3, s17, s14
	s_add_i32 s3, s2, s3
	s_mul_i32 s2, s16, s14
	s_lshl_b64 s[2:3], s[2:3], 1
	s_add_u32 s8, s0, s2
	s_addc_u32 s9, s1, s3
.LBB1_4:
	s_lshl_b32 s38, s7, 8
	s_cmp_lt_i32 s38, s23
	s_cselect_b64 s[0:1], -1, 0
	s_lshl_b32 s39, s6, 6
	s_cmp_lt_i32 s39, s35
	s_cselect_b64 s[2:3], -1, 0
	s_and_b64 s[0:1], s[0:1], s[2:3]
	s_andn2_b64 vcc, exec, s[0:1]
	s_cbranch_vccnz .LBB1_192
; %bb.5:
	v_lshrrev_b32_e32 v2, 2, v0
	v_and_b32_e32 v1, 0xf0, v2
	v_or_b32_e32 v6, s38, v1
	v_and_b32_e32 v48, 12, v2
	s_mov_b32 s24, 0
	v_or_b32_e32 v26, v6, v48
	s_cmp_lg_u64 s[8:9], 0
	s_mov_b32 s25, s24
	s_cselect_b64 s[10:11], -1, 0
	v_cmp_gt_i32_e64 s[0:1], s23, v26
	s_mov_b32 s26, s24
	s_mov_b32 s27, s24
	v_pk_mov_b32 v[2:3], s[24:25], s[24:25] op_sel:[0,1]
	s_and_b64 s[14:15], s[10:11], s[0:1]
	v_pk_mov_b32 v[4:5], s[26:27], s[26:27] op_sel:[0,1]
	s_and_saveexec_b64 s[2:3], s[14:15]
	s_cbranch_execz .LBB1_7
; %bb.6:
	v_ashrrev_i32_e32 v27, 31, v26
	v_lshlrev_b64 v[2:3], 1, v[26:27]
	v_mov_b32_e32 v4, s9
	v_add_co_u32_e32 v2, vcc, s8, v2
	v_addc_co_u32_e32 v3, vcc, v4, v3, vcc
	flat_load_ushort v2, v[2:3]
	v_mov_b32_e32 v3, 0
	v_mov_b32_e32 v4, v3
	;; [unrolled: 1-line block ×3, first 2 shown]
	s_waitcnt vmcnt(0) lgkmcnt(0)
	v_lshlrev_b32_e32 v2, 16, v2
.LBB1_7:
	s_or_b64 exec, exec, s[2:3]
	v_or_b32_e32 v7, 1, v26
	v_cmp_gt_i32_e64 s[2:3], s23, v7
	s_and_b64 s[18:19], s[10:11], s[2:3]
	s_and_saveexec_b64 s[14:15], s[18:19]
	s_cbranch_execz .LBB1_9
; %bb.8:
	v_ashrrev_i32_e32 v27, 31, v26
	v_lshlrev_b64 v[8:9], 1, v[26:27]
	v_mov_b32_e32 v3, s9
	v_add_co_u32_e32 v8, vcc, s8, v8
	v_addc_co_u32_e32 v9, vcc, v3, v9, vcc
	flat_load_ushort v3, v[8:9] offset:2
	s_waitcnt vmcnt(0) lgkmcnt(0)
	v_lshlrev_b32_e32 v3, 16, v3
.LBB1_9:
	s_or_b64 exec, exec, s[14:15]
	v_or_b32_e32 v7, 2, v26
	v_cmp_gt_i32_e64 s[18:19], s23, v7
	s_and_b64 s[20:21], s[10:11], s[18:19]
	s_and_saveexec_b64 s[14:15], s[20:21]
	s_cbranch_execz .LBB1_11
; %bb.10:
	v_ashrrev_i32_e32 v27, 31, v26
	v_lshlrev_b64 v[8:9], 1, v[26:27]
	v_mov_b32_e32 v4, s9
	v_add_co_u32_e32 v8, vcc, s8, v8
	v_addc_co_u32_e32 v9, vcc, v4, v9, vcc
	flat_load_ushort v4, v[8:9] offset:4
	s_waitcnt vmcnt(0) lgkmcnt(0)
	v_lshlrev_b32_e32 v4, 16, v4
.LBB1_11:
	s_or_b64 exec, exec, s[14:15]
	v_or_b32_e32 v7, 3, v26
	v_cmp_gt_i32_e32 vcc, s23, v7
	v_cmp_le_i32_e64 s[20:21], s23, v7
	s_and_b64 s[14:15], s[10:11], vcc
	s_and_saveexec_b64 s[10:11], s[14:15]
	s_cbranch_execz .LBB1_13
; %bb.12:
	v_ashrrev_i32_e32 v27, 31, v26
	v_lshlrev_b64 v[8:9], 1, v[26:27]
	v_mov_b32_e32 v5, s9
	v_add_co_u32_e32 v8, vcc, s8, v8
	v_addc_co_u32_e32 v9, vcc, v5, v9, vcc
	flat_load_ushort v5, v[8:9] offset:6
	s_waitcnt vmcnt(0) lgkmcnt(0)
	v_lshlrev_b32_e32 v5, 16, v5
.LBB1_13:
	s_or_b64 exec, exec, s[10:11]
	s_add_i32 s7, s35, 63
	s_ashr_i32 s8, s7, 31
	s_lshr_b32 s8, s8, 26
	s_add_i32 s7, s7, s8
	s_ashr_i32 s7, s7, 6
	s_add_i32 s8, s35, -1
	s_cmp_lt_u32 s8, 0xffffff81
	s_cselect_b64 s[8:9], -1, 0
	s_cmp_lt_i32 s6, s7
	s_cselect_b64 s[10:11], -1, 0
	s_and_b64 s[8:9], s[8:9], s[10:11]
	s_and_b64 vcc, exec, s[8:9]
	s_cbranch_vccz .LBB1_192
; %bb.14:
	s_load_dwordx8 s[24:31], s[4:5], 0x10
	s_add_i32 s8, s22, 63
	s_ashr_i32 s9, s8, 31
	s_lshr_b32 s9, s9, 26
	s_add_i32 s8, s8, s9
	s_mul_hi_i32 s11, s34, s22
	s_mul_i32 s10, s34, s22
	s_ashr_i32 s33, s8, 6
	s_ashr_i32 s9, s34, 31
	;; [unrolled: 1-line block ×3, first 2 shown]
	s_lshl_b64 s[10:11], s[10:11], 2
	s_mov_b32 s8, s34
	s_waitcnt lgkmcnt(0)
	s_add_u32 s10, s24, s10
	s_addc_u32 s11, s25, s11
	s_lshl_b64 s[36:37], s[8:9], 2
	s_add_u32 s34, s26, s36
	s_addc_u32 s44, s27, s37
	s_add_u32 s45, s28, s36
	s_addc_u32 s46, s29, s37
	s_cmp_gt_i32 s22, 0
	s_cselect_b64 s[26:27], -1, 0
	s_load_dwordx2 s[14:15], s[4:5], 0x30
	s_load_dword s47, s[4:5], 0x58
	s_max_i32 s4, s33, 1
	s_add_u32 s48, s34, 64
	s_addc_u32 s49, s44, 0
	s_add_u32 s50, s45, 64
	s_addc_u32 s51, s46, 0
	s_add_u32 s52, s34, 0x80
	v_lshlrev_b32_e32 v7, 2, v0
	s_addc_u32 s53, s44, 0
	v_and_b32_e32 v7, 60, v7
	s_add_u32 s54, s45, 0x80
	v_and_b32_e32 v49, 15, v0
	v_lshlrev_b32_e32 v8, 2, v7
	s_addc_u32 s55, s46, 0
	v_lshrrev_b32_e32 v50, 4, v0
	v_mov_b32_e32 v9, s11
	v_add_co_u32_e32 v51, vcc, s10, v8
	s_movk_i32 s10, 0x44
	v_or_b32_e32 v6, v6, v49
	s_add_u32 s56, s34, 0xc0
	v_addc_co_u32_e32 v52, vcc, 0, v9, vcc
	v_mad_u32_u24 v53, v50, s10, v7
	v_cmp_gt_i32_e64 s[10:11], s23, v6
	s_addc_u32 s57, s44, 0
	v_lshlrev_b32_e32 v6, 4, v49
	s_add_u32 s58, s45, 0xc0
	v_mov_b32_e32 v8, s25
	v_add_co_u32_e32 v6, vcc, s24, v6
	s_addc_u32 s59, s46, 0
	s_lshl_b32 s60, s4, 6
	v_addc_co_u32_e32 v8, vcc, 0, v8, vcc
	s_movk_i32 s4, 0x100
	v_add_co_u32_e32 v28, vcc, s4, v6
	s_mul_i32 s4, s12, s17
	s_mul_hi_u32 s5, s12, s16
	s_add_i32 s4, s5, s4
	s_mul_i32 s5, s13, s16
	v_add3_u32 v1, s38, v1, v49
	v_cmp_gt_i32_e64 s[8:9], s22, v7
	v_or_b32_e32 v56, 64, v7
	s_add_i32 s5, s4, s5
	s_mul_i32 s4, s12, s16
	v_mad_i64_i32 v[6:7], s[12:13], s22, v1, 0
	v_addc_co_u32_e32 v29, vcc, 0, v8, vcc
	s_lshl_b64 s[4:5], s[4:5], 1
	v_lshlrev_b64 v[6:7], 1, v[6:7]
	v_mov_b32_e32 v1, s5
	v_add_co_u32_e32 v6, vcc, s4, v6
	v_lshrrev_b32_e32 v0, 1, v0
	v_addc_co_u32_e32 v1, vcc, v1, v7, vcc
	v_and_b32_e32 v0, 24, v0
	v_add_co_u32_e32 v0, vcc, v6, v0
	v_addc_co_u32_e32 v1, vcc, 0, v1, vcc
	s_waitcnt lgkmcnt(0)
	v_mov_b32_e32 v6, s15
	v_add_co_u32_e32 v0, vcc, s14, v0
	v_addc_co_u32_e32 v1, vcc, v1, v6, vcc
	s_movk_i32 s4, 0x64
	v_add_co_u32_e32 v0, vcc, s4, v0
	s_mov_b32 s43, s22
	v_lshlrev_b32_e32 v54, 1, v53
	v_ashrrev_i32_e32 v27, 31, v26
	v_mul_u32_u24_e32 v55, 0x88, v49
	v_add_u32_e32 v30, s39, v50
	s_lshl_b32 s61, s47, 6
	v_addc_co_u32_e32 v1, vcc, 0, v1, vcc
	s_mov_b32 s62, 0x7f800000
	s_movk_i32 s63, 0x7fff
	s_mov_b32 s64, 0xffff
	s_mov_b32 s65, 0x7060302
	;; [unrolled: 1-line block ×3, first 2 shown]
	v_mov_b32_e32 v57, 0
	s_branch .LBB1_17
.LBB1_15:                               ;   in Loop: Header=BB1_17 Depth=1
	s_or_b64 exec, exec, s[12:13]
.LBB1_16:                               ;   in Loop: Header=BB1_17 Depth=1
	s_or_b64 exec, exec, s[4:5]
	s_add_i32 s6, s47, s6
	s_cmp_lt_i32 s6, s7
	v_add_u32_e32 v30, s61, v30
	s_barrier
	s_cbranch_scc0 .LBB1_192
.LBB1_17:                               ; =>This Loop Header: Depth=1
                                        ;     Child Loop BB1_39 Depth 2
                                        ;     Child Loop BB1_118 Depth 2
	;; [unrolled: 1-line block ×29, first 2 shown]
	s_lshl_b32 s24, s6, 6
	v_or_b32_e32 v8, s24, v50
	v_cmp_gt_i32_e64 s[12:13], s35, v8
	s_and_b64 s[14:15], s[12:13], s[8:9]
	v_mov_b32_e32 v7, 0
	v_mov_b32_e32 v6, 0
	s_and_saveexec_b64 s[4:5], s[14:15]
	s_cbranch_execz .LBB1_35
; %bb.18:                               ;   in Loop: Header=BB1_17 Depth=1
	v_mad_i64_i32 v[6:7], s[14:15], v8, s43, 0
	v_lshlrev_b64 v[6:7], 2, v[6:7]
	v_add_co_u32_e32 v6, vcc, v51, v6
	v_addc_co_u32_e32 v7, vcc, v52, v7, vcc
	global_load_dwordx4 v[6:9], v[6:7], off
	s_waitcnt vmcnt(0)
	v_and_b32_e32 v10, 0x7f800000, v6
	v_cmp_ne_u32_e32 vcc, s62, v10
                                        ; implicit-def: $vgpr10
	s_and_saveexec_b64 s[14:15], vcc
	s_xor_b64 s[14:15], exec, s[14:15]
; %bb.19:                               ;   in Loop: Header=BB1_17 Depth=1
	v_bfe_u32 v10, v6, 16, 1
	v_add3_u32 v10, v6, v10, s63
; %bb.20:                               ;   in Loop: Header=BB1_17 Depth=1
	s_andn2_saveexec_b64 s[14:15], s[14:15]
; %bb.21:                               ;   in Loop: Header=BB1_17 Depth=1
	v_or_b32_e32 v10, 0x10000, v6
	v_cmp_eq_u32_sdwa vcc, v6, v57 src0_sel:WORD_0 src1_sel:DWORD
	v_cndmask_b32_e32 v10, v10, v6, vcc
; %bb.22:                               ;   in Loop: Header=BB1_17 Depth=1
	s_or_b64 exec, exec, s[14:15]
	v_and_b32_e32 v6, 0x7f800000, v7
	v_cmp_ne_u32_e32 vcc, s62, v6
                                        ; implicit-def: $vgpr11
	s_and_saveexec_b64 s[14:15], vcc
	s_xor_b64 s[14:15], exec, s[14:15]
; %bb.23:                               ;   in Loop: Header=BB1_17 Depth=1
	v_bfe_u32 v6, v7, 16, 1
	v_add3_u32 v11, v7, v6, s63
; %bb.24:                               ;   in Loop: Header=BB1_17 Depth=1
	s_andn2_saveexec_b64 s[14:15], s[14:15]
; %bb.25:                               ;   in Loop: Header=BB1_17 Depth=1
	v_or_b32_e32 v6, 0x10000, v7
	v_cmp_eq_u32_sdwa vcc, v7, v57 src0_sel:WORD_0 src1_sel:DWORD
	v_cndmask_b32_e32 v11, v6, v7, vcc
; %bb.26:                               ;   in Loop: Header=BB1_17 Depth=1
	s_or_b64 exec, exec, s[14:15]
	v_and_b32_e32 v6, 0x7f800000, v8
	v_cmp_ne_u32_e32 vcc, s62, v6
                                        ; implicit-def: $vgpr12
	s_and_saveexec_b64 s[14:15], vcc
	s_xor_b64 s[14:15], exec, s[14:15]
; %bb.27:                               ;   in Loop: Header=BB1_17 Depth=1
	v_bfe_u32 v6, v8, 16, 1
	v_add3_u32 v12, v8, v6, s63
; %bb.28:                               ;   in Loop: Header=BB1_17 Depth=1
	s_andn2_saveexec_b64 s[14:15], s[14:15]
; %bb.29:                               ;   in Loop: Header=BB1_17 Depth=1
	v_or_b32_e32 v6, 0x10000, v8
	v_cmp_eq_u32_sdwa vcc, v8, v57 src0_sel:WORD_0 src1_sel:DWORD
	v_cndmask_b32_e32 v12, v6, v8, vcc
; %bb.30:                               ;   in Loop: Header=BB1_17 Depth=1
	s_or_b64 exec, exec, s[14:15]
	v_and_b32_e32 v6, 0x7f800000, v9
	v_cmp_ne_u32_e32 vcc, s62, v6
                                        ; implicit-def: $vgpr13
	s_and_saveexec_b64 s[14:15], vcc
	s_xor_b64 s[14:15], exec, s[14:15]
; %bb.31:                               ;   in Loop: Header=BB1_17 Depth=1
	v_bfe_u32 v6, v9, 16, 1
	v_add3_u32 v13, v9, v6, s63
                                        ; implicit-def: $vgpr6_vgpr7_vgpr8_vgpr9
; %bb.32:                               ;   in Loop: Header=BB1_17 Depth=1
	s_andn2_saveexec_b64 s[14:15], s[14:15]
; %bb.33:                               ;   in Loop: Header=BB1_17 Depth=1
	v_or_b32_e32 v6, 0x10000, v9
	v_cmp_eq_u32_sdwa vcc, v9, v57 src0_sel:WORD_0 src1_sel:DWORD
	v_cndmask_b32_e32 v13, v6, v9, vcc
; %bb.34:                               ;   in Loop: Header=BB1_17 Depth=1
	s_or_b64 exec, exec, s[14:15]
	v_perm_b32 v6, v11, v10, s65
	v_perm_b32 v7, v13, v12, s65
.LBB1_35:                               ;   in Loop: Header=BB1_17 Depth=1
	s_or_b64 exec, exec, s[4:5]
	ds_write_b64 v54, v[6:7]
	v_pk_mov_b32 v[20:21], v[4:5], v[4:5] op_sel:[0,1]
	v_pk_mov_b32 v[16:17], v[4:5], v[4:5] op_sel:[0,1]
	;; [unrolled: 1-line block ×4, first 2 shown]
	s_andn2_b64 vcc, exec, s[26:27]
	v_pk_mov_b32 v[18:19], v[2:3], v[2:3] op_sel:[0,1]
	v_pk_mov_b32 v[14:15], v[2:3], v[2:3] op_sel:[0,1]
	;; [unrolled: 1-line block ×4, first 2 shown]
	s_waitcnt lgkmcnt(0)
	s_barrier
	s_cbranch_vccnz .LBB1_106
; %bb.36:                               ;   in Loop: Header=BB1_17 Depth=1
	v_ashrrev_i32_e32 v31, 31, v30
	v_lshlrev_b64 v[6:7], 2, v[30:31]
	v_mov_b32_e32 v8, s37
	v_add_co_u32_e32 v6, vcc, s36, v6
	v_addc_co_u32_e32 v7, vcc, v8, v7, vcc
	v_mul_lo_u32 v7, s43, v7
	v_mul_lo_u32 v8, s42, v6
	s_waitcnt vmcnt(0)
	v_mad_u64_u32 v[32:33], s[4:5], s43, v6, v[28:29]
	v_add3_u32 v33, v8, v33, v7
	v_pk_mov_b32 v[20:21], v[4:5], v[4:5] op_sel:[0,1]
	v_pk_mov_b32 v[16:17], v[4:5], v[4:5] op_sel:[0,1]
	;; [unrolled: 1-line block ×4, first 2 shown]
	s_mov_b32 s25, 0
	s_mov_b32 s28, 1
	v_pk_mov_b32 v[34:35], v[0:1], v[0:1] op_sel:[0,1]
	v_pk_mov_b32 v[18:19], v[2:3], v[2:3] op_sel:[0,1]
	;; [unrolled: 1-line block ×5, first 2 shown]
	s_branch .LBB1_39
.LBB1_37:                               ;   in Loop: Header=BB1_39 Depth=2
	s_or_b64 exec, exec, s[14:15]
.LBB1_38:                               ;   in Loop: Header=BB1_39 Depth=2
	s_or_b64 exec, exec, s[4:5]
	s_nop 3
	ds_read2_b64 v[22:25], v42 offset0:8 offset1:12
	v_add_co_u32_e32 v32, vcc, 0x100, v32
	v_addc_co_u32_e32 v33, vcc, 0, v33, vcc
	s_waitcnt vmcnt(0) lgkmcnt(0)
	v_mfma_f32_16x16x16bf16_1k v[18:21], v[40:41], v[22:23], v[18:21]
	v_add_u32_e32 v22, 0x880, v42
	ds_read2_b64 v[44:47], v22 offset0:8 offset1:12
	v_add_u32_e32 v22, 0x1100, v42
	ds_read2_b64 v[58:61], v22 offset0:8 offset1:12
	v_add_u32_e32 v22, 0x1980, v42
	s_add_i32 s25, s25, 64
	s_add_i32 s28, s28, 1
	s_waitcnt lgkmcnt(1)
	v_mfma_f32_16x16x16bf16_1k v[14:17], v[40:41], v[44:45], v[14:17]
	ds_read2_b64 v[42:45], v22 offset0:8 offset1:12
	v_add_co_u32_e32 v34, vcc, 0x80, v34
	v_addc_co_u32_e32 v35, vcc, 0, v35, vcc
	s_cmp_eq_u32 s60, s25
	s_waitcnt lgkmcnt(0)
	v_mfma_f32_16x16x16bf16_1k v[6:9], v[40:41], v[58:59], v[6:9]
	s_barrier
	v_mfma_f32_16x16x16bf16_1k v[40:43], v[40:41], v[42:43], v[10:13]
	v_mfma_f32_16x16x16bf16_1k v[18:21], v[38:39], v[24:25], v[18:21]
	;; [unrolled: 1-line block ×5, first 2 shown]
	s_cbranch_scc1 .LBB1_106
.LBB1_39:                               ;   Parent Loop BB1_17 Depth=1
                                        ; =>  This Inner Loop Header: Depth=2
	s_add_i32 s4, s28, -1
	s_and_b32 s29, s4, 1
	s_cmp_ge_i32 s28, s33
	s_cbranch_scc1 .LBB1_59
; %bb.40:                               ;   in Loop: Header=BB1_39 Depth=2
	v_add_u32_e32 v22, s25, v56
	v_cmp_gt_i32_e32 vcc, s22, v22
	s_and_b64 s[14:15], s[12:13], vcc
	v_mov_b32_e32 v23, 0
	v_mov_b32_e32 v22, 0
	s_and_saveexec_b64 s[4:5], s[14:15]
	s_cbranch_execz .LBB1_58
; %bb.41:                               ;   in Loop: Header=BB1_39 Depth=2
	global_load_dwordx4 v[22:25], v[32:33], off
	s_waitcnt vmcnt(0)
	v_and_b32_e32 v31, 0x7f800000, v22
	v_cmp_ne_u32_e32 vcc, s62, v31
                                        ; implicit-def: $vgpr31
	s_and_saveexec_b64 s[14:15], vcc
	s_xor_b64 s[14:15], exec, s[14:15]
; %bb.42:                               ;   in Loop: Header=BB1_39 Depth=2
	v_bfe_u32 v31, v22, 16, 1
	v_add3_u32 v31, v22, v31, s63
; %bb.43:                               ;   in Loop: Header=BB1_39 Depth=2
	s_andn2_saveexec_b64 s[14:15], s[14:15]
; %bb.44:                               ;   in Loop: Header=BB1_39 Depth=2
	v_or_b32_e32 v31, 0x10000, v22
	v_cmp_eq_u32_sdwa vcc, v22, v57 src0_sel:WORD_0 src1_sel:DWORD
	v_cndmask_b32_e32 v31, v31, v22, vcc
; %bb.45:                               ;   in Loop: Header=BB1_39 Depth=2
	s_or_b64 exec, exec, s[14:15]
	v_and_b32_e32 v22, 0x7f800000, v23
	v_cmp_ne_u32_e32 vcc, s62, v22
                                        ; implicit-def: $vgpr36
	s_and_saveexec_b64 s[14:15], vcc
	s_xor_b64 s[14:15], exec, s[14:15]
; %bb.46:                               ;   in Loop: Header=BB1_39 Depth=2
	v_bfe_u32 v22, v23, 16, 1
	v_add3_u32 v36, v23, v22, s63
; %bb.47:                               ;   in Loop: Header=BB1_39 Depth=2
	s_andn2_saveexec_b64 s[14:15], s[14:15]
; %bb.48:                               ;   in Loop: Header=BB1_39 Depth=2
	v_or_b32_e32 v22, 0x10000, v23
	v_cmp_eq_u32_sdwa vcc, v23, v57 src0_sel:WORD_0 src1_sel:DWORD
	v_cndmask_b32_e32 v36, v22, v23, vcc
; %bb.49:                               ;   in Loop: Header=BB1_39 Depth=2
	s_or_b64 exec, exec, s[14:15]
	v_and_b32_e32 v22, 0x7f800000, v24
	v_cmp_ne_u32_e32 vcc, s62, v22
                                        ; implicit-def: $vgpr37
	s_and_saveexec_b64 s[14:15], vcc
	s_xor_b64 s[14:15], exec, s[14:15]
; %bb.50:                               ;   in Loop: Header=BB1_39 Depth=2
	v_bfe_u32 v22, v24, 16, 1
	v_add3_u32 v37, v24, v22, s63
; %bb.51:                               ;   in Loop: Header=BB1_39 Depth=2
	s_andn2_saveexec_b64 s[14:15], s[14:15]
; %bb.52:                               ;   in Loop: Header=BB1_39 Depth=2
	v_or_b32_e32 v22, 0x10000, v24
	v_cmp_eq_u32_sdwa vcc, v24, v57 src0_sel:WORD_0 src1_sel:DWORD
	v_cndmask_b32_e32 v37, v22, v24, vcc
; %bb.53:                               ;   in Loop: Header=BB1_39 Depth=2
	s_or_b64 exec, exec, s[14:15]
	v_and_b32_e32 v22, 0x7f800000, v25
	v_cmp_ne_u32_e32 vcc, s62, v22
                                        ; implicit-def: $vgpr38
	s_and_saveexec_b64 s[14:15], vcc
	s_xor_b64 s[14:15], exec, s[14:15]
; %bb.54:                               ;   in Loop: Header=BB1_39 Depth=2
	v_bfe_u32 v22, v25, 16, 1
	v_add3_u32 v38, v25, v22, s63
                                        ; implicit-def: $vgpr22_vgpr23_vgpr24_vgpr25
; %bb.55:                               ;   in Loop: Header=BB1_39 Depth=2
	s_andn2_saveexec_b64 s[14:15], s[14:15]
; %bb.56:                               ;   in Loop: Header=BB1_39 Depth=2
	v_or_b32_e32 v22, 0x10000, v25
	v_cmp_eq_u32_sdwa vcc, v25, v57 src0_sel:WORD_0 src1_sel:DWORD
	v_cndmask_b32_e32 v38, v22, v25, vcc
; %bb.57:                               ;   in Loop: Header=BB1_39 Depth=2
	s_or_b64 exec, exec, s[14:15]
	v_perm_b32 v22, v36, v31, s65
	v_perm_b32 v23, v38, v37, s65
.LBB1_58:                               ;   in Loop: Header=BB1_39 Depth=2
	s_or_b64 exec, exec, s[4:5]
	s_xor_b32 s4, s29, 1
	s_mulk_i32 s4, 0x2200
	v_lshl_add_u32 v24, v53, 1, s4
	ds_write_b64 v24, v[22:23]
.LBB1_59:                               ;   in Loop: Header=BB1_39 Depth=2
	v_mov_b32_e32 v36, 0
	v_add_u32_e32 v31, s25, v48
	v_mov_b32_e32 v22, 0
	v_mov_b32_e32 v23, 0
	s_and_saveexec_b64 s[4:5], s[10:11]
	s_cbranch_execz .LBB1_71
; %bb.60:                               ;   in Loop: Header=BB1_39 Depth=2
	v_add_u32_e32 v22, 3, v31
	v_cmp_le_i32_e32 vcc, s22, v22
                                        ; implicit-def: $vgpr23
	s_and_saveexec_b64 s[14:15], vcc
	s_xor_b64 s[14:15], exec, s[14:15]
	s_cbranch_execz .LBB1_68
; %bb.61:                               ;   in Loop: Header=BB1_39 Depth=2
	v_cmp_gt_i32_e32 vcc, s22, v31
	v_mov_b32_e32 v23, 0
	v_mov_b32_e32 v22, 0
	s_and_saveexec_b64 s[16:17], vcc
	s_cbranch_execz .LBB1_63
; %bb.62:                               ;   in Loop: Header=BB1_39 Depth=2
	global_load_ushort v22, v[34:35], off offset:-100
	s_waitcnt vmcnt(0)
	v_and_b32_e32 v22, 0xffff, v22
.LBB1_63:                               ;   in Loop: Header=BB1_39 Depth=2
	s_or_b64 exec, exec, s[16:17]
	v_add_u32_e32 v24, 1, v31
	v_cmp_gt_i32_e32 vcc, s22, v24
	s_and_saveexec_b64 s[16:17], vcc
	s_cbranch_execz .LBB1_65
; %bb.64:                               ;   in Loop: Header=BB1_39 Depth=2
	global_load_ushort v24, v[34:35], off offset:-98
	s_waitcnt vmcnt(0)
	v_perm_b32 v22, v24, v22, s66
.LBB1_65:                               ;   in Loop: Header=BB1_39 Depth=2
	s_or_b64 exec, exec, s[16:17]
	v_add_u32_e32 v24, 2, v31
	v_cmp_gt_i32_e32 vcc, s22, v24
	s_and_saveexec_b64 s[16:17], vcc
	s_cbranch_execz .LBB1_67
; %bb.66:                               ;   in Loop: Header=BB1_39 Depth=2
	global_load_ushort v24, v[34:35], off offset:-96
	s_waitcnt vmcnt(0)
	v_bfi_b32 v23, s64, v24, v23
.LBB1_67:                               ;   in Loop: Header=BB1_39 Depth=2
	s_or_b64 exec, exec, s[16:17]
.LBB1_68:                               ;   in Loop: Header=BB1_39 Depth=2
	s_andn2_saveexec_b64 s[14:15], s[14:15]
	s_cbranch_execz .LBB1_70
; %bb.69:                               ;   in Loop: Header=BB1_39 Depth=2
	global_load_dwordx2 v[22:23], v[34:35], off offset:-100
.LBB1_70:                               ;   in Loop: Header=BB1_39 Depth=2
	s_or_b64 exec, exec, s[14:15]
.LBB1_71:                               ;   in Loop: Header=BB1_39 Depth=2
	s_or_b64 exec, exec, s[4:5]
	v_mov_b32_e32 v37, 0
	s_and_saveexec_b64 s[4:5], s[10:11]
	s_cbranch_execz .LBB1_83
; %bb.72:                               ;   in Loop: Header=BB1_39 Depth=2
	v_add_u32_e32 v24, 19, v31
	v_cmp_le_i32_e32 vcc, s22, v24
                                        ; implicit-def: $vgpr37
	s_and_saveexec_b64 s[14:15], vcc
	s_xor_b64 s[14:15], exec, s[14:15]
	s_cbranch_execz .LBB1_80
; %bb.73:                               ;   in Loop: Header=BB1_39 Depth=2
	v_add_u32_e32 v24, 16, v31
	v_cmp_gt_i32_e32 vcc, s22, v24
	v_mov_b32_e32 v37, 0
	v_mov_b32_e32 v36, 0
	s_and_saveexec_b64 s[16:17], vcc
	s_cbranch_execz .LBB1_75
; %bb.74:                               ;   in Loop: Header=BB1_39 Depth=2
	global_load_ushort v24, v[34:35], off offset:-68
	s_waitcnt vmcnt(0)
	v_and_b32_e32 v36, 0xffff, v24
.LBB1_75:                               ;   in Loop: Header=BB1_39 Depth=2
	s_or_b64 exec, exec, s[16:17]
	v_add_u32_e32 v24, 17, v31
	v_cmp_gt_i32_e32 vcc, s22, v24
	s_and_saveexec_b64 s[16:17], vcc
	s_cbranch_execz .LBB1_77
; %bb.76:                               ;   in Loop: Header=BB1_39 Depth=2
	global_load_ushort v24, v[34:35], off offset:-66
	s_waitcnt vmcnt(0)
	v_perm_b32 v36, v24, v36, s66
.LBB1_77:                               ;   in Loop: Header=BB1_39 Depth=2
	s_or_b64 exec, exec, s[16:17]
	v_add_u32_e32 v24, 18, v31
	v_cmp_gt_i32_e32 vcc, s22, v24
	s_and_saveexec_b64 s[16:17], vcc
	s_cbranch_execz .LBB1_79
; %bb.78:                               ;   in Loop: Header=BB1_39 Depth=2
	global_load_ushort v24, v[34:35], off offset:-64
	s_waitcnt vmcnt(0)
	v_bfi_b32 v37, s64, v24, v37
.LBB1_79:                               ;   in Loop: Header=BB1_39 Depth=2
	s_or_b64 exec, exec, s[16:17]
.LBB1_80:                               ;   in Loop: Header=BB1_39 Depth=2
	s_andn2_saveexec_b64 s[14:15], s[14:15]
	s_cbranch_execz .LBB1_82
; %bb.81:                               ;   in Loop: Header=BB1_39 Depth=2
	global_load_dwordx2 v[36:37], v[34:35], off offset:-68
.LBB1_82:                               ;   in Loop: Header=BB1_39 Depth=2
	s_or_b64 exec, exec, s[14:15]
.LBB1_83:                               ;   in Loop: Header=BB1_39 Depth=2
	s_or_b64 exec, exec, s[4:5]
	s_mulk_i32 s29, 0x2200
	v_add_u32_e32 v24, s29, v55
	v_lshl_add_u32 v42, v48, 1, v24
	ds_read_b64 v[24:25], v42
	ds_read_b64 v[38:39], v42 offset:2176
	ds_read_b64 v[40:41], v42 offset:4352
	;; [unrolled: 1-line block ×3, first 2 shown]
	s_waitcnt vmcnt(0) lgkmcnt(3)
	v_mfma_f32_16x16x16bf16_1k v[18:21], v[22:23], v[24:25], v[18:21]
	s_waitcnt lgkmcnt(2)
	v_mfma_f32_16x16x16bf16_1k v[14:17], v[22:23], v[38:39], v[14:17]
	v_mov_b32_e32 v38, 0
	s_waitcnt lgkmcnt(1)
	v_mfma_f32_16x16x16bf16_1k v[10:13], v[22:23], v[40:41], v[10:13]
	v_mov_b32_e32 v40, 0
	v_mov_b32_e32 v41, 0
	s_waitcnt lgkmcnt(0)
	v_mfma_f32_16x16x16bf16_1k v[22:25], v[22:23], v[44:45], v[6:9]
	s_and_saveexec_b64 s[4:5], s[10:11]
	s_cbranch_execz .LBB1_95
; %bb.84:                               ;   in Loop: Header=BB1_39 Depth=2
	s_nop 4
	v_add_u32_e32 v6, 35, v31
	v_cmp_le_i32_e32 vcc, s22, v6
                                        ; implicit-def: $vgpr41
	s_and_saveexec_b64 s[14:15], vcc
	s_xor_b64 s[14:15], exec, s[14:15]
	s_cbranch_execz .LBB1_92
; %bb.85:                               ;   in Loop: Header=BB1_39 Depth=2
	v_add_u32_e32 v6, 32, v31
	v_cmp_gt_i32_e32 vcc, s22, v6
	v_mov_b32_e32 v41, 0
	v_mov_b32_e32 v40, 0
	s_and_saveexec_b64 s[16:17], vcc
	s_cbranch_execz .LBB1_87
; %bb.86:                               ;   in Loop: Header=BB1_39 Depth=2
	global_load_ushort v6, v[34:35], off offset:-36
	s_waitcnt vmcnt(0)
	v_and_b32_e32 v40, 0xffff, v6
.LBB1_87:                               ;   in Loop: Header=BB1_39 Depth=2
	s_or_b64 exec, exec, s[16:17]
	v_add_u32_e32 v6, 33, v31
	v_cmp_gt_i32_e32 vcc, s22, v6
	s_and_saveexec_b64 s[16:17], vcc
	s_cbranch_execz .LBB1_89
; %bb.88:                               ;   in Loop: Header=BB1_39 Depth=2
	global_load_ushort v6, v[34:35], off offset:-34
	s_waitcnt vmcnt(0)
	v_perm_b32 v40, v6, v40, s66
.LBB1_89:                               ;   in Loop: Header=BB1_39 Depth=2
	s_or_b64 exec, exec, s[16:17]
	v_add_u32_e32 v6, 34, v31
	v_cmp_gt_i32_e32 vcc, s22, v6
	s_and_saveexec_b64 s[16:17], vcc
	s_cbranch_execz .LBB1_91
; %bb.90:                               ;   in Loop: Header=BB1_39 Depth=2
	global_load_ushort v6, v[34:35], off offset:-32
	s_waitcnt vmcnt(0)
	v_bfi_b32 v41, s64, v6, v41
.LBB1_91:                               ;   in Loop: Header=BB1_39 Depth=2
	s_or_b64 exec, exec, s[16:17]
.LBB1_92:                               ;   in Loop: Header=BB1_39 Depth=2
	s_andn2_saveexec_b64 s[14:15], s[14:15]
	s_cbranch_execz .LBB1_94
; %bb.93:                               ;   in Loop: Header=BB1_39 Depth=2
	global_load_dwordx2 v[40:41], v[34:35], off offset:-36
.LBB1_94:                               ;   in Loop: Header=BB1_39 Depth=2
	s_or_b64 exec, exec, s[14:15]
.LBB1_95:                               ;   in Loop: Header=BB1_39 Depth=2
	s_or_b64 exec, exec, s[4:5]
	s_nop 3
	ds_read_b64 v[6:7], v42 offset:32
	ds_read_b64 v[8:9], v42 offset:2208
	;; [unrolled: 1-line block ×4, first 2 shown]
	v_mov_b32_e32 v39, 0
	s_waitcnt lgkmcnt(3)
	v_mfma_f32_16x16x16bf16_1k v[18:21], v[36:37], v[6:7], v[18:21]
	s_waitcnt lgkmcnt(2)
	v_mfma_f32_16x16x16bf16_1k v[14:17], v[36:37], v[8:9], v[14:17]
	;; [unrolled: 2-line block ×4, first 2 shown]
	s_and_saveexec_b64 s[4:5], s[10:11]
	s_cbranch_execz .LBB1_38
; %bb.96:                               ;   in Loop: Header=BB1_39 Depth=2
	s_nop 4
	v_add_u32_e32 v22, 51, v31
	v_cmp_le_i32_e32 vcc, s22, v22
                                        ; implicit-def: $vgpr39
	s_and_saveexec_b64 s[14:15], vcc
	s_xor_b64 s[14:15], exec, s[14:15]
	s_cbranch_execz .LBB1_104
; %bb.97:                               ;   in Loop: Header=BB1_39 Depth=2
	v_add_u32_e32 v22, 48, v31
	v_cmp_gt_i32_e32 vcc, s22, v22
	v_mov_b32_e32 v39, 0
	v_mov_b32_e32 v38, 0
	s_and_saveexec_b64 s[16:17], vcc
	s_cbranch_execz .LBB1_99
; %bb.98:                               ;   in Loop: Header=BB1_39 Depth=2
	global_load_ushort v22, v[34:35], off offset:-4
	s_waitcnt vmcnt(0)
	v_and_b32_e32 v38, 0xffff, v22
.LBB1_99:                               ;   in Loop: Header=BB1_39 Depth=2
	s_or_b64 exec, exec, s[16:17]
	v_add_u32_e32 v22, 49, v31
	v_cmp_gt_i32_e32 vcc, s22, v22
	s_and_saveexec_b64 s[16:17], vcc
	s_cbranch_execz .LBB1_101
; %bb.100:                              ;   in Loop: Header=BB1_39 Depth=2
	global_load_ushort v22, v[34:35], off offset:-2
	s_waitcnt vmcnt(0)
	v_perm_b32 v38, v22, v38, s66
.LBB1_101:                              ;   in Loop: Header=BB1_39 Depth=2
	s_or_b64 exec, exec, s[16:17]
	v_add_u32_e32 v22, 50, v31
	v_cmp_gt_i32_e32 vcc, s22, v22
	s_and_saveexec_b64 s[16:17], vcc
	s_cbranch_execz .LBB1_103
; %bb.102:                              ;   in Loop: Header=BB1_39 Depth=2
	global_load_ushort v22, v[34:35], off
	s_waitcnt vmcnt(0)
	v_bfi_b32 v39, s64, v22, v39
.LBB1_103:                              ;   in Loop: Header=BB1_39 Depth=2
	s_or_b64 exec, exec, s[16:17]
.LBB1_104:                              ;   in Loop: Header=BB1_39 Depth=2
	s_andn2_saveexec_b64 s[14:15], s[14:15]
	s_cbranch_execz .LBB1_37
; %bb.105:                              ;   in Loop: Header=BB1_39 Depth=2
	global_load_dwordx2 v[38:39], v[34:35], off offset:-4
	s_branch .LBB1_37
.LBB1_106:                              ;   in Loop: Header=BB1_17 Depth=1
	v_or_b32_e32 v44, s24, v49
	v_pk_mov_b32 v[38:39], 0, 0
	v_cmp_gt_i32_e32 vcc, s35, v44
	s_waitcnt vmcnt(0)
	v_mov_b32_e32 v36, 0
	s_nop 0
	v_pk_mov_b32 v[42:43], v[38:39], v[38:39] op_sel:[0,1]
	v_mov_b32_e32 v40, 0
	s_and_saveexec_b64 s[4:5], vcc
	s_cbranch_execz .LBB1_108
; %bb.107:                              ;   in Loop: Header=BB1_17 Depth=1
	v_ashrrev_i32_e32 v45, 31, v44
	v_lshlrev_b64 v[22:23], 2, v[44:45]
	v_mov_b32_e32 v25, s44
	v_add_co_u32_e32 v24, vcc, s34, v22
	v_addc_co_u32_e32 v25, vcc, v25, v23, vcc
	global_load_dword v24, v[24:25], off
	v_mov_b32_e32 v25, s46
	v_add_co_u32_e32 v22, vcc, s45, v22
	v_addc_co_u32_e32 v23, vcc, v25, v23, vcc
	global_load_dword v40, v[22:23], off
	v_mov_b32_e32 v25, s31
	s_waitcnt vmcnt(1)
	v_mad_i64_i32 v[22:23], s[12:13], v24, s23, 0
	v_lshlrev_b64 v[22:23], 2, v[22:23]
	v_add_co_u32_e32 v42, vcc, s30, v22
	v_addc_co_u32_e32 v43, vcc, v25, v23, vcc
.LBB1_108:                              ;   in Loop: Header=BB1_17 Depth=1
	s_or_b64 exec, exec, s[4:5]
	v_or_b32_e32 v22, 16, v44
	v_cmp_gt_i32_e32 vcc, s35, v22
	s_and_saveexec_b64 s[4:5], vcc
	s_cbranch_execz .LBB1_110
; %bb.109:                              ;   in Loop: Header=BB1_17 Depth=1
	v_ashrrev_i32_e32 v45, 31, v44
	v_lshlrev_b64 v[22:23], 2, v[44:45]
	v_mov_b32_e32 v25, s49
	v_add_co_u32_e32 v24, vcc, s48, v22
	v_addc_co_u32_e32 v25, vcc, v25, v23, vcc
	global_load_dword v24, v[24:25], off
	v_mov_b32_e32 v25, s51
	v_add_co_u32_e32 v22, vcc, s50, v22
	v_addc_co_u32_e32 v23, vcc, v25, v23, vcc
	global_load_dword v36, v[22:23], off
	v_mov_b32_e32 v25, s31
	s_waitcnt vmcnt(1)
	v_mad_i64_i32 v[22:23], s[12:13], v24, s23, 0
	v_lshlrev_b64 v[22:23], 2, v[22:23]
	v_add_co_u32_e32 v38, vcc, s30, v22
	v_addc_co_u32_e32 v39, vcc, v25, v23, vcc
.LBB1_110:                              ;   in Loop: Header=BB1_17 Depth=1
	s_or_b64 exec, exec, s[4:5]
	v_or_b32_e32 v22, 32, v44
	v_pk_mov_b32 v[24:25], 0, 0
	v_cmp_gt_i32_e32 vcc, s35, v22
	v_mov_b32_e32 v22, 0
	v_pk_mov_b32 v[34:35], v[24:25], v[24:25] op_sel:[0,1]
	v_mov_b32_e32 v32, 0
	s_and_saveexec_b64 s[4:5], vcc
	s_cbranch_execz .LBB1_112
; %bb.111:                              ;   in Loop: Header=BB1_17 Depth=1
	v_ashrrev_i32_e32 v45, 31, v44
	v_lshlrev_b64 v[32:33], 2, v[44:45]
	v_mov_b32_e32 v23, s53
	v_add_co_u32_e32 v34, vcc, s52, v32
	v_addc_co_u32_e32 v35, vcc, v23, v33, vcc
	global_load_dword v23, v[34:35], off
	v_mov_b32_e32 v31, s55
	v_add_co_u32_e32 v32, vcc, s54, v32
	v_addc_co_u32_e32 v33, vcc, v31, v33, vcc
	global_load_dword v32, v[32:33], off
	v_mov_b32_e32 v31, s31
	s_waitcnt vmcnt(1)
	v_mad_i64_i32 v[34:35], s[12:13], v23, s23, 0
	v_lshlrev_b64 v[34:35], 2, v[34:35]
	v_add_co_u32_e32 v34, vcc, s30, v34
	v_addc_co_u32_e32 v35, vcc, v31, v35, vcc
.LBB1_112:                              ;   in Loop: Header=BB1_17 Depth=1
	s_or_b64 exec, exec, s[4:5]
	v_or_b32_e32 v23, 48, v44
	v_cmp_gt_i32_e32 vcc, s35, v23
	s_and_saveexec_b64 s[4:5], vcc
	s_cbranch_execz .LBB1_114
; %bb.113:                              ;   in Loop: Header=BB1_17 Depth=1
	v_ashrrev_i32_e32 v45, 31, v44
	v_lshlrev_b64 v[22:23], 2, v[44:45]
	v_mov_b32_e32 v25, s57
	v_add_co_u32_e32 v24, vcc, s56, v22
	v_addc_co_u32_e32 v25, vcc, v25, v23, vcc
	global_load_dword v24, v[24:25], off
	v_mov_b32_e32 v25, s59
	v_add_co_u32_e32 v22, vcc, s58, v22
	v_addc_co_u32_e32 v23, vcc, v25, v23, vcc
	global_load_dword v22, v[22:23], off
	v_mov_b32_e32 v23, s31
	s_waitcnt vmcnt(1)
	v_mad_i64_i32 v[24:25], s[12:13], v24, s23, 0
	v_lshlrev_b64 v[24:25], 2, v[24:25]
	v_add_co_u32_e32 v24, vcc, s30, v24
	v_addc_co_u32_e32 v25, vcc, v23, v25, vcc
.LBB1_114:                              ;   in Loop: Header=BB1_17 Depth=1
	s_or_b64 exec, exec, s[4:5]
	v_cmp_ne_u64_e32 vcc, 0, v[42:43]
	s_and_saveexec_b64 s[4:5], s[20:21]
	s_xor_b64 s[24:25], exec, s[4:5]
	s_cbranch_execz .LBB1_155
; %bb.115:                              ;   in Loop: Header=BB1_17 Depth=1
	v_cmp_ne_u64_e64 s[16:17], 0, v[38:39]
	v_cmp_ne_u64_e64 s[14:15], 0, v[34:35]
	;; [unrolled: 1-line block ×3, first 2 shown]
	s_and_saveexec_b64 s[28:29], s[0:1]
	s_cbranch_execz .LBB1_128
; %bb.116:                              ;   in Loop: Header=BB1_17 Depth=1
	s_and_saveexec_b64 s[38:39], vcc
	s_cbranch_execz .LBB1_119
; %bb.117:                              ;   in Loop: Header=BB1_17 Depth=1
	v_lshlrev_b64 v[44:45], 2, v[26:27]
	v_add_co_u32_e64 v44, s[4:5], v42, v44
	v_addc_co_u32_e64 v45, s[4:5], v43, v45, s[4:5]
	flat_load_dword v47, v[44:45]
	s_waitcnt vmcnt(0)
	v_mul_f32_e32 v9, v40, v18
	s_mov_b64 s[40:41], 0
.LBB1_118:                              ;   Parent Loop BB1_17 Depth=1
                                        ; =>  This Inner Loop Header: Depth=2
	s_waitcnt lgkmcnt(0)
	v_add_f32_e32 v46, v47, v9
	flat_atomic_cmpswap v13, v[44:45], v[46:47] glc
	s_waitcnt vmcnt(0) lgkmcnt(0)
	v_cmp_eq_u32_e64 s[4:5], v13, v47
	s_or_b64 s[40:41], s[4:5], s[40:41]
	v_mov_b32_e32 v47, v13
	s_andn2_b64 exec, exec, s[40:41]
	s_cbranch_execnz .LBB1_118
.LBB1_119:                              ;   in Loop: Header=BB1_17 Depth=1
	s_or_b64 exec, exec, s[38:39]
	s_and_saveexec_b64 s[38:39], s[16:17]
	s_cbranch_execz .LBB1_122
; %bb.120:                              ;   in Loop: Header=BB1_17 Depth=1
	v_lshlrev_b64 v[44:45], 2, v[26:27]
	v_add_co_u32_e64 v44, s[4:5], v38, v44
	v_addc_co_u32_e64 v45, s[4:5], v39, v45, s[4:5]
	flat_load_dword v47, v[44:45]
	s_waitcnt vmcnt(0)
	v_mul_f32_e32 v9, v36, v14
	s_mov_b64 s[40:41], 0
.LBB1_121:                              ;   Parent Loop BB1_17 Depth=1
                                        ; =>  This Inner Loop Header: Depth=2
	s_waitcnt lgkmcnt(0)
	v_add_f32_e32 v46, v47, v9
	flat_atomic_cmpswap v13, v[44:45], v[46:47] glc
	s_waitcnt vmcnt(0) lgkmcnt(0)
	v_cmp_eq_u32_e64 s[4:5], v13, v47
	s_or_b64 s[40:41], s[4:5], s[40:41]
	v_mov_b32_e32 v47, v13
	s_andn2_b64 exec, exec, s[40:41]
	s_cbranch_execnz .LBB1_121
.LBB1_122:                              ;   in Loop: Header=BB1_17 Depth=1
	s_or_b64 exec, exec, s[38:39]
	s_and_saveexec_b64 s[38:39], s[14:15]
	s_cbranch_execz .LBB1_125
; %bb.123:                              ;   in Loop: Header=BB1_17 Depth=1
	v_lshlrev_b64 v[44:45], 2, v[26:27]
	v_add_co_u32_e64 v44, s[4:5], v34, v44
	v_addc_co_u32_e64 v45, s[4:5], v35, v45, s[4:5]
	flat_load_dword v47, v[44:45]
	s_waitcnt vmcnt(0)
	v_mul_f32_e32 v9, v32, v10
	s_mov_b64 s[40:41], 0
.LBB1_124:                              ;   Parent Loop BB1_17 Depth=1
                                        ; =>  This Inner Loop Header: Depth=2
	s_waitcnt lgkmcnt(0)
	v_add_f32_e32 v46, v47, v9
	flat_atomic_cmpswap v10, v[44:45], v[46:47] glc
	s_waitcnt vmcnt(0) lgkmcnt(0)
	v_cmp_eq_u32_e64 s[4:5], v10, v47
	s_or_b64 s[40:41], s[4:5], s[40:41]
	v_mov_b32_e32 v47, v10
	s_andn2_b64 exec, exec, s[40:41]
	s_cbranch_execnz .LBB1_124
.LBB1_125:                              ;   in Loop: Header=BB1_17 Depth=1
	s_or_b64 exec, exec, s[38:39]
	s_and_b64 exec, exec, s[12:13]
	s_cbranch_execz .LBB1_128
; %bb.126:                              ;   in Loop: Header=BB1_17 Depth=1
	v_lshlrev_b64 v[44:45], 2, v[26:27]
	v_add_co_u32_e64 v44, s[4:5], v24, v44
	v_addc_co_u32_e64 v45, s[4:5], v25, v45, s[4:5]
	flat_load_dword v47, v[44:45]
	s_waitcnt vmcnt(0)
	v_mul_f32_e32 v6, v22, v6
	s_mov_b64 s[38:39], 0
.LBB1_127:                              ;   Parent Loop BB1_17 Depth=1
                                        ; =>  This Inner Loop Header: Depth=2
	s_waitcnt lgkmcnt(0)
	v_add_f32_e32 v46, v47, v6
	flat_atomic_cmpswap v9, v[44:45], v[46:47] glc
	s_waitcnt vmcnt(0) lgkmcnt(0)
	v_cmp_eq_u32_e64 s[4:5], v9, v47
	s_or_b64 s[38:39], s[4:5], s[38:39]
	v_mov_b32_e32 v47, v9
	s_andn2_b64 exec, exec, s[38:39]
	s_cbranch_execnz .LBB1_127
.LBB1_128:                              ;   in Loop: Header=BB1_17 Depth=1
	s_or_b64 exec, exec, s[28:29]
	s_and_saveexec_b64 s[28:29], s[2:3]
	s_cbranch_execz .LBB1_141
; %bb.129:                              ;   in Loop: Header=BB1_17 Depth=1
	s_and_saveexec_b64 s[38:39], vcc
	s_cbranch_execz .LBB1_132
; %bb.130:                              ;   in Loop: Header=BB1_17 Depth=1
	v_lshlrev_b64 v[44:45], 2, v[26:27]
	v_add_co_u32_e64 v44, s[4:5], v42, v44
	v_addc_co_u32_e64 v45, s[4:5], v43, v45, s[4:5]
	flat_load_dword v47, v[44:45] offset:4
	s_waitcnt vmcnt(0)
	v_mul_f32_e32 v6, v40, v19
	s_mov_b64 s[40:41], 0
.LBB1_131:                              ;   Parent Loop BB1_17 Depth=1
                                        ; =>  This Inner Loop Header: Depth=2
	s_waitcnt lgkmcnt(0)
	v_add_f32_e32 v46, v47, v6
	flat_atomic_cmpswap v9, v[44:45], v[46:47] offset:4 glc
	s_waitcnt vmcnt(0) lgkmcnt(0)
	v_cmp_eq_u32_e64 s[4:5], v9, v47
	s_or_b64 s[40:41], s[4:5], s[40:41]
	v_mov_b32_e32 v47, v9
	s_andn2_b64 exec, exec, s[40:41]
	s_cbranch_execnz .LBB1_131
.LBB1_132:                              ;   in Loop: Header=BB1_17 Depth=1
	s_or_b64 exec, exec, s[38:39]
	s_and_saveexec_b64 s[38:39], s[16:17]
	s_cbranch_execz .LBB1_135
; %bb.133:                              ;   in Loop: Header=BB1_17 Depth=1
	v_lshlrev_b64 v[18:19], 2, v[26:27]
	v_add_co_u32_e64 v18, s[4:5], v38, v18
	v_addc_co_u32_e64 v19, s[4:5], v39, v19, s[4:5]
	flat_load_dword v45, v[18:19] offset:4
	s_waitcnt vmcnt(0)
	v_mul_f32_e32 v6, v36, v15
	s_mov_b64 s[40:41], 0
.LBB1_134:                              ;   Parent Loop BB1_17 Depth=1
                                        ; =>  This Inner Loop Header: Depth=2
	s_waitcnt lgkmcnt(0)
	v_add_f32_e32 v44, v45, v6
	flat_atomic_cmpswap v9, v[18:19], v[44:45] offset:4 glc
	s_waitcnt vmcnt(0) lgkmcnt(0)
	v_cmp_eq_u32_e64 s[4:5], v9, v45
	s_or_b64 s[40:41], s[4:5], s[40:41]
	v_mov_b32_e32 v45, v9
	s_andn2_b64 exec, exec, s[40:41]
	s_cbranch_execnz .LBB1_134
.LBB1_135:                              ;   in Loop: Header=BB1_17 Depth=1
	s_or_b64 exec, exec, s[38:39]
	s_and_saveexec_b64 s[38:39], s[14:15]
	s_cbranch_execz .LBB1_138
; %bb.136:                              ;   in Loop: Header=BB1_17 Depth=1
	v_lshlrev_b64 v[14:15], 2, v[26:27]
	v_add_co_u32_e64 v14, s[4:5], v34, v14
	v_addc_co_u32_e64 v15, s[4:5], v35, v15, s[4:5]
	flat_load_dword v19, v[14:15] offset:4
	s_waitcnt vmcnt(0)
	v_mul_f32_e32 v6, v32, v11
	s_mov_b64 s[40:41], 0
.LBB1_137:                              ;   Parent Loop BB1_17 Depth=1
                                        ; =>  This Inner Loop Header: Depth=2
	s_waitcnt lgkmcnt(0)
	v_add_f32_e32 v18, v19, v6
	flat_atomic_cmpswap v9, v[14:15], v[18:19] offset:4 glc
	s_waitcnt vmcnt(0) lgkmcnt(0)
	v_cmp_eq_u32_e64 s[4:5], v9, v19
	s_or_b64 s[40:41], s[4:5], s[40:41]
	v_mov_b32_e32 v19, v9
	s_andn2_b64 exec, exec, s[40:41]
	s_cbranch_execnz .LBB1_137
.LBB1_138:                              ;   in Loop: Header=BB1_17 Depth=1
	s_or_b64 exec, exec, s[38:39]
	s_and_b64 exec, exec, s[12:13]
	s_cbranch_execz .LBB1_141
; %bb.139:                              ;   in Loop: Header=BB1_17 Depth=1
	v_lshlrev_b64 v[10:11], 2, v[26:27]
	v_add_co_u32_e64 v10, s[4:5], v24, v10
	v_addc_co_u32_e64 v11, s[4:5], v25, v11, s[4:5]
	flat_load_dword v15, v[10:11] offset:4
	s_waitcnt vmcnt(0)
	v_mul_f32_e32 v6, v22, v7
	s_mov_b64 s[38:39], 0
.LBB1_140:                              ;   Parent Loop BB1_17 Depth=1
                                        ; =>  This Inner Loop Header: Depth=2
	s_waitcnt lgkmcnt(0)
	v_add_f32_e32 v14, v15, v6
	flat_atomic_cmpswap v7, v[10:11], v[14:15] offset:4 glc
	s_waitcnt vmcnt(0) lgkmcnt(0)
	v_cmp_eq_u32_e64 s[4:5], v7, v15
	s_or_b64 s[38:39], s[4:5], s[38:39]
	v_mov_b32_e32 v15, v7
	s_andn2_b64 exec, exec, s[38:39]
	s_cbranch_execnz .LBB1_140
.LBB1_141:                              ;   in Loop: Header=BB1_17 Depth=1
	s_or_b64 exec, exec, s[28:29]
	s_and_saveexec_b64 s[28:29], s[18:19]
	s_cbranch_execz .LBB1_154
; %bb.142:                              ;   in Loop: Header=BB1_17 Depth=1
	s_and_saveexec_b64 s[38:39], vcc
	s_cbranch_execz .LBB1_145
; %bb.143:                              ;   in Loop: Header=BB1_17 Depth=1
	v_lshlrev_b64 v[6:7], 2, v[26:27]
	v_add_co_u32_e64 v6, s[4:5], v42, v6
	v_addc_co_u32_e64 v7, s[4:5], v43, v7, s[4:5]
	flat_load_dword v11, v[6:7] offset:8
	s_waitcnt vmcnt(0)
	v_mul_f32_e32 v9, v40, v20
	s_mov_b64 s[40:41], 0
.LBB1_144:                              ;   Parent Loop BB1_17 Depth=1
                                        ; =>  This Inner Loop Header: Depth=2
	s_waitcnt lgkmcnt(0)
	v_add_f32_e32 v10, v11, v9
	flat_atomic_cmpswap v10, v[6:7], v[10:11] offset:8 glc
	s_waitcnt vmcnt(0) lgkmcnt(0)
	v_cmp_eq_u32_e64 s[4:5], v10, v11
	s_or_b64 s[40:41], s[4:5], s[40:41]
	v_mov_b32_e32 v11, v10
	s_andn2_b64 exec, exec, s[40:41]
	s_cbranch_execnz .LBB1_144
.LBB1_145:                              ;   in Loop: Header=BB1_17 Depth=1
	s_or_b64 exec, exec, s[38:39]
	s_and_saveexec_b64 s[38:39], s[16:17]
	s_cbranch_execz .LBB1_148
; %bb.146:                              ;   in Loop: Header=BB1_17 Depth=1
	v_lshlrev_b64 v[6:7], 2, v[26:27]
	v_add_co_u32_e64 v6, s[4:5], v38, v6
	v_addc_co_u32_e64 v7, s[4:5], v39, v7, s[4:5]
	flat_load_dword v11, v[6:7] offset:8
	s_waitcnt vmcnt(0)
	v_mul_f32_e32 v9, v36, v16
	s_mov_b64 s[16:17], 0
.LBB1_147:                              ;   Parent Loop BB1_17 Depth=1
                                        ; =>  This Inner Loop Header: Depth=2
	s_waitcnt lgkmcnt(0)
	v_add_f32_e32 v10, v11, v9
	flat_atomic_cmpswap v10, v[6:7], v[10:11] offset:8 glc
	s_waitcnt vmcnt(0) lgkmcnt(0)
	v_cmp_eq_u32_e64 s[4:5], v10, v11
	s_or_b64 s[16:17], s[4:5], s[16:17]
	v_mov_b32_e32 v11, v10
	s_andn2_b64 exec, exec, s[16:17]
	s_cbranch_execnz .LBB1_147
.LBB1_148:                              ;   in Loop: Header=BB1_17 Depth=1
	s_or_b64 exec, exec, s[38:39]
	s_and_saveexec_b64 s[16:17], s[14:15]
	s_cbranch_execz .LBB1_151
; %bb.149:                              ;   in Loop: Header=BB1_17 Depth=1
	v_lshlrev_b64 v[6:7], 2, v[26:27]
	v_add_co_u32_e64 v6, s[4:5], v34, v6
	v_addc_co_u32_e64 v7, s[4:5], v35, v7, s[4:5]
	flat_load_dword v11, v[6:7] offset:8
	s_waitcnt vmcnt(0)
	v_mul_f32_e32 v9, v32, v12
	s_mov_b64 s[14:15], 0
.LBB1_150:                              ;   Parent Loop BB1_17 Depth=1
                                        ; =>  This Inner Loop Header: Depth=2
	s_waitcnt lgkmcnt(0)
	v_add_f32_e32 v10, v11, v9
	flat_atomic_cmpswap v10, v[6:7], v[10:11] offset:8 glc
	s_waitcnt vmcnt(0) lgkmcnt(0)
	v_cmp_eq_u32_e64 s[4:5], v10, v11
	s_or_b64 s[14:15], s[4:5], s[14:15]
	v_mov_b32_e32 v11, v10
	s_andn2_b64 exec, exec, s[14:15]
	s_cbranch_execnz .LBB1_150
.LBB1_151:                              ;   in Loop: Header=BB1_17 Depth=1
	s_or_b64 exec, exec, s[16:17]
	s_and_b64 exec, exec, s[12:13]
	s_cbranch_execz .LBB1_154
; %bb.152:                              ;   in Loop: Header=BB1_17 Depth=1
	v_lshlrev_b64 v[6:7], 2, v[26:27]
	v_add_co_u32_e64 v6, s[4:5], v24, v6
	v_addc_co_u32_e64 v7, s[4:5], v25, v7, s[4:5]
	flat_load_dword v9, v[6:7] offset:8
	s_waitcnt vmcnt(0)
	v_mul_f32_e32 v10, v22, v8
	s_mov_b64 s[12:13], 0
.LBB1_153:                              ;   Parent Loop BB1_17 Depth=1
                                        ; =>  This Inner Loop Header: Depth=2
	s_waitcnt lgkmcnt(0)
	v_add_f32_e32 v8, v9, v10
	flat_atomic_cmpswap v8, v[6:7], v[8:9] offset:8 glc
	s_waitcnt vmcnt(0) lgkmcnt(0)
	v_cmp_eq_u32_e64 s[4:5], v8, v9
	s_or_b64 s[12:13], s[4:5], s[12:13]
	v_mov_b32_e32 v9, v8
	s_andn2_b64 exec, exec, s[12:13]
	s_cbranch_execnz .LBB1_153
.LBB1_154:                              ;   in Loop: Header=BB1_17 Depth=1
	s_or_b64 exec, exec, s[28:29]
                                        ; implicit-def: $vgpr18_vgpr19_vgpr20_vgpr21
                                        ; implicit-def: $vgpr14_vgpr15_vgpr16_vgpr17
                                        ; implicit-def: $vgpr10_vgpr11_vgpr12_vgpr13
                                        ; implicit-def: $vgpr6_vgpr7_vgpr8_vgpr9
                                        ; implicit-def: $vgpr42_vgpr43
                                        ; implicit-def: $vgpr40
                                        ; implicit-def: $vgpr38_vgpr39
                                        ; implicit-def: $vgpr36
                                        ; implicit-def: $vgpr34_vgpr35
                                        ; implicit-def: $vgpr32
                                        ; implicit-def: $vgpr24_vgpr25
                                        ; implicit-def: $vgpr22
.LBB1_155:                              ;   in Loop: Header=BB1_17 Depth=1
	s_andn2_saveexec_b64 s[4:5], s[24:25]
	s_cbranch_execz .LBB1_16
; %bb.156:                              ;   in Loop: Header=BB1_17 Depth=1
	s_and_saveexec_b64 s[12:13], vcc
	s_cbranch_execz .LBB1_165
; %bb.157:                              ;   in Loop: Header=BB1_17 Depth=1
	v_lshlrev_b64 v[44:45], 2, v[26:27]
	v_add_co_u32_e32 v42, vcc, v42, v44
	v_addc_co_u32_e32 v43, vcc, v43, v45, vcc
	flat_load_dword v41, v[42:43]
	s_mov_b64 s[14:15], 0
	s_waitcnt vmcnt(0) lgkmcnt(0)
	v_pk_mul_f32 v[20:21], v[20:21], v[40:41] op_sel_hi:[1,0]
	v_pk_mul_f32 v[18:19], v[18:19], v[40:41] op_sel_hi:[1,0]
.LBB1_158:                              ;   Parent Loop BB1_17 Depth=1
                                        ; =>  This Inner Loop Header: Depth=2
	v_add_f32_e32 v40, v41, v18
	flat_atomic_cmpswap v23, v[42:43], v[40:41] glc
	s_waitcnt vmcnt(0) lgkmcnt(0)
	v_cmp_eq_u32_e32 vcc, v23, v41
	s_or_b64 s[14:15], vcc, s[14:15]
	v_mov_b32_e32 v41, v23
	s_andn2_b64 exec, exec, s[14:15]
	s_cbranch_execnz .LBB1_158
; %bb.159:                              ;   in Loop: Header=BB1_17 Depth=1
	s_or_b64 exec, exec, s[14:15]
	flat_load_dword v41, v[42:43] offset:4
	s_mov_b64 s[14:15], 0
.LBB1_160:                              ;   Parent Loop BB1_17 Depth=1
                                        ; =>  This Inner Loop Header: Depth=2
	s_waitcnt vmcnt(0) lgkmcnt(0)
	v_add_f32_e32 v40, v41, v19
	flat_atomic_cmpswap v18, v[42:43], v[40:41] offset:4 glc
	s_waitcnt vmcnt(0) lgkmcnt(0)
	v_cmp_eq_u32_e32 vcc, v18, v41
	s_or_b64 s[14:15], vcc, s[14:15]
	v_mov_b32_e32 v41, v18
	s_andn2_b64 exec, exec, s[14:15]
	s_cbranch_execnz .LBB1_160
; %bb.161:                              ;   in Loop: Header=BB1_17 Depth=1
	s_or_b64 exec, exec, s[14:15]
	flat_load_dword v19, v[42:43] offset:8
	s_mov_b64 s[14:15], 0
.LBB1_162:                              ;   Parent Loop BB1_17 Depth=1
                                        ; =>  This Inner Loop Header: Depth=2
	s_waitcnt vmcnt(0) lgkmcnt(0)
	v_add_f32_e32 v18, v19, v20
	flat_atomic_cmpswap v18, v[42:43], v[18:19] offset:8 glc
	s_waitcnt vmcnt(0) lgkmcnt(0)
	v_cmp_eq_u32_e32 vcc, v18, v19
	s_or_b64 s[14:15], vcc, s[14:15]
	v_mov_b32_e32 v19, v18
	s_andn2_b64 exec, exec, s[14:15]
	s_cbranch_execnz .LBB1_162
	;; [unrolled: 15-line block ×3, first 2 shown]
.LBB1_165:                              ;   in Loop: Header=BB1_17 Depth=1
	s_or_b64 exec, exec, s[12:13]
	v_cmp_ne_u64_e32 vcc, 0, v[38:39]
	s_and_saveexec_b64 s[12:13], vcc
	s_cbranch_execz .LBB1_174
; %bb.166:                              ;   in Loop: Header=BB1_17 Depth=1
	v_lshlrev_b64 v[18:19], 2, v[26:27]
	v_add_co_u32_e32 v18, vcc, v38, v18
	v_addc_co_u32_e32 v19, vcc, v39, v19, vcc
	flat_load_dword v21, v[18:19]
	s_waitcnt vmcnt(0)
	v_pk_mul_f32 v[16:17], v[16:17], v[36:37] op_sel_hi:[1,0]
	v_pk_mul_f32 v[14:15], v[14:15], v[36:37] op_sel_hi:[1,0]
	s_mov_b64 s[14:15], 0
.LBB1_167:                              ;   Parent Loop BB1_17 Depth=1
                                        ; =>  This Inner Loop Header: Depth=2
	s_waitcnt lgkmcnt(0)
	v_add_f32_e32 v20, v21, v14
	flat_atomic_cmpswap v20, v[18:19], v[20:21] glc
	s_waitcnt vmcnt(0) lgkmcnt(0)
	v_cmp_eq_u32_e32 vcc, v20, v21
	s_or_b64 s[14:15], vcc, s[14:15]
	v_mov_b32_e32 v21, v20
	s_andn2_b64 exec, exec, s[14:15]
	s_cbranch_execnz .LBB1_167
; %bb.168:                              ;   in Loop: Header=BB1_17 Depth=1
	s_or_b64 exec, exec, s[14:15]
	flat_load_dword v21, v[18:19] offset:4
	s_mov_b64 s[14:15], 0
.LBB1_169:                              ;   Parent Loop BB1_17 Depth=1
                                        ; =>  This Inner Loop Header: Depth=2
	s_waitcnt vmcnt(0) lgkmcnt(0)
	v_add_f32_e32 v20, v21, v15
	flat_atomic_cmpswap v14, v[18:19], v[20:21] offset:4 glc
	s_waitcnt vmcnt(0) lgkmcnt(0)
	v_cmp_eq_u32_e32 vcc, v14, v21
	s_or_b64 s[14:15], vcc, s[14:15]
	v_mov_b32_e32 v21, v14
	s_andn2_b64 exec, exec, s[14:15]
	s_cbranch_execnz .LBB1_169
; %bb.170:                              ;   in Loop: Header=BB1_17 Depth=1
	s_or_b64 exec, exec, s[14:15]
	flat_load_dword v15, v[18:19] offset:8
	s_mov_b64 s[14:15], 0
.LBB1_171:                              ;   Parent Loop BB1_17 Depth=1
                                        ; =>  This Inner Loop Header: Depth=2
	s_waitcnt vmcnt(0) lgkmcnt(0)
	v_add_f32_e32 v14, v15, v16
	flat_atomic_cmpswap v14, v[18:19], v[14:15] offset:8 glc
	s_waitcnt vmcnt(0) lgkmcnt(0)
	v_cmp_eq_u32_e32 vcc, v14, v15
	s_or_b64 s[14:15], vcc, s[14:15]
	v_mov_b32_e32 v15, v14
	s_andn2_b64 exec, exec, s[14:15]
	s_cbranch_execnz .LBB1_171
	;; [unrolled: 15-line block ×3, first 2 shown]
.LBB1_174:                              ;   in Loop: Header=BB1_17 Depth=1
	s_or_b64 exec, exec, s[12:13]
	v_cmp_ne_u64_e32 vcc, 0, v[34:35]
	s_and_saveexec_b64 s[12:13], vcc
	s_cbranch_execz .LBB1_183
; %bb.175:                              ;   in Loop: Header=BB1_17 Depth=1
	v_lshlrev_b64 v[14:15], 2, v[26:27]
	v_add_co_u32_e32 v14, vcc, v34, v14
	v_addc_co_u32_e32 v15, vcc, v35, v15, vcc
	flat_load_dword v17, v[14:15]
	s_waitcnt vmcnt(0)
	v_pk_mul_f32 v[12:13], v[12:13], v[32:33] op_sel_hi:[1,0]
	v_pk_mul_f32 v[10:11], v[10:11], v[32:33] op_sel_hi:[1,0]
	s_mov_b64 s[14:15], 0
.LBB1_176:                              ;   Parent Loop BB1_17 Depth=1
                                        ; =>  This Inner Loop Header: Depth=2
	s_waitcnt lgkmcnt(0)
	v_add_f32_e32 v16, v17, v10
	flat_atomic_cmpswap v16, v[14:15], v[16:17] glc
	s_waitcnt vmcnt(0) lgkmcnt(0)
	v_cmp_eq_u32_e32 vcc, v16, v17
	s_or_b64 s[14:15], vcc, s[14:15]
	v_mov_b32_e32 v17, v16
	s_andn2_b64 exec, exec, s[14:15]
	s_cbranch_execnz .LBB1_176
; %bb.177:                              ;   in Loop: Header=BB1_17 Depth=1
	s_or_b64 exec, exec, s[14:15]
	flat_load_dword v17, v[14:15] offset:4
	s_mov_b64 s[14:15], 0
.LBB1_178:                              ;   Parent Loop BB1_17 Depth=1
                                        ; =>  This Inner Loop Header: Depth=2
	s_waitcnt vmcnt(0) lgkmcnt(0)
	v_add_f32_e32 v16, v17, v11
	flat_atomic_cmpswap v10, v[14:15], v[16:17] offset:4 glc
	s_waitcnt vmcnt(0) lgkmcnt(0)
	v_cmp_eq_u32_e32 vcc, v10, v17
	s_or_b64 s[14:15], vcc, s[14:15]
	v_mov_b32_e32 v17, v10
	s_andn2_b64 exec, exec, s[14:15]
	s_cbranch_execnz .LBB1_178
; %bb.179:                              ;   in Loop: Header=BB1_17 Depth=1
	s_or_b64 exec, exec, s[14:15]
	flat_load_dword v11, v[14:15] offset:8
	s_mov_b64 s[14:15], 0
.LBB1_180:                              ;   Parent Loop BB1_17 Depth=1
                                        ; =>  This Inner Loop Header: Depth=2
	s_waitcnt vmcnt(0) lgkmcnt(0)
	v_add_f32_e32 v10, v11, v12
	flat_atomic_cmpswap v10, v[14:15], v[10:11] offset:8 glc
	s_waitcnt vmcnt(0) lgkmcnt(0)
	v_cmp_eq_u32_e32 vcc, v10, v11
	s_or_b64 s[14:15], vcc, s[14:15]
	v_mov_b32_e32 v11, v10
	s_andn2_b64 exec, exec, s[14:15]
	s_cbranch_execnz .LBB1_180
	;; [unrolled: 15-line block ×3, first 2 shown]
.LBB1_183:                              ;   in Loop: Header=BB1_17 Depth=1
	s_or_b64 exec, exec, s[12:13]
	v_cmp_ne_u64_e32 vcc, 0, v[24:25]
	s_and_saveexec_b64 s[12:13], vcc
	s_cbranch_execz .LBB1_15
; %bb.184:                              ;   in Loop: Header=BB1_17 Depth=1
	v_lshlrev_b64 v[10:11], 2, v[26:27]
	v_add_co_u32_e32 v10, vcc, v24, v10
	v_addc_co_u32_e32 v11, vcc, v25, v11, vcc
	flat_load_dword v13, v[10:11]
	s_waitcnt vmcnt(0)
	v_pk_mul_f32 v[8:9], v[8:9], v[22:23] op_sel_hi:[1,0]
	v_pk_mul_f32 v[6:7], v[6:7], v[22:23] op_sel_hi:[1,0]
	s_mov_b64 s[14:15], 0
.LBB1_185:                              ;   Parent Loop BB1_17 Depth=1
                                        ; =>  This Inner Loop Header: Depth=2
	s_waitcnt lgkmcnt(0)
	v_add_f32_e32 v12, v13, v6
	flat_atomic_cmpswap v12, v[10:11], v[12:13] glc
	s_waitcnt vmcnt(0) lgkmcnt(0)
	v_cmp_eq_u32_e32 vcc, v12, v13
	s_or_b64 s[14:15], vcc, s[14:15]
	v_mov_b32_e32 v13, v12
	s_andn2_b64 exec, exec, s[14:15]
	s_cbranch_execnz .LBB1_185
; %bb.186:                              ;   in Loop: Header=BB1_17 Depth=1
	s_or_b64 exec, exec, s[14:15]
	flat_load_dword v13, v[10:11] offset:4
	s_mov_b64 s[14:15], 0
.LBB1_187:                              ;   Parent Loop BB1_17 Depth=1
                                        ; =>  This Inner Loop Header: Depth=2
	s_waitcnt vmcnt(0) lgkmcnt(0)
	v_add_f32_e32 v12, v13, v7
	flat_atomic_cmpswap v6, v[10:11], v[12:13] offset:4 glc
	s_waitcnt vmcnt(0) lgkmcnt(0)
	v_cmp_eq_u32_e32 vcc, v6, v13
	s_or_b64 s[14:15], vcc, s[14:15]
	v_mov_b32_e32 v13, v6
	s_andn2_b64 exec, exec, s[14:15]
	s_cbranch_execnz .LBB1_187
; %bb.188:                              ;   in Loop: Header=BB1_17 Depth=1
	s_or_b64 exec, exec, s[14:15]
	flat_load_dword v7, v[10:11] offset:8
	s_mov_b64 s[14:15], 0
.LBB1_189:                              ;   Parent Loop BB1_17 Depth=1
                                        ; =>  This Inner Loop Header: Depth=2
	s_waitcnt vmcnt(0) lgkmcnt(0)
	v_add_f32_e32 v6, v7, v8
	flat_atomic_cmpswap v6, v[10:11], v[6:7] offset:8 glc
	s_waitcnt vmcnt(0) lgkmcnt(0)
	v_cmp_eq_u32_e32 vcc, v6, v7
	s_or_b64 s[14:15], vcc, s[14:15]
	v_mov_b32_e32 v7, v6
	s_andn2_b64 exec, exec, s[14:15]
	s_cbranch_execnz .LBB1_189
	;; [unrolled: 15-line block ×3, first 2 shown]
	s_branch .LBB1_15
.LBB1_192:
	s_endpgm
	.section	.rodata,"a",@progbits
	.p2align	6, 0x0
	.amdhsa_kernel _Z28moe_mlp2_scatter_mfma_kernelPKiiiPKfS0_S2_PfPK14__hip_bfloat16S6_iixx
		.amdhsa_group_segment_fixed_size 17408
		.amdhsa_private_segment_fixed_size 0
		.amdhsa_kernarg_size 344
		.amdhsa_user_sgpr_count 6
		.amdhsa_user_sgpr_private_segment_buffer 1
		.amdhsa_user_sgpr_dispatch_ptr 0
		.amdhsa_user_sgpr_queue_ptr 0
		.amdhsa_user_sgpr_kernarg_segment_ptr 1
		.amdhsa_user_sgpr_dispatch_id 0
		.amdhsa_user_sgpr_flat_scratch_init 0
		.amdhsa_user_sgpr_kernarg_preload_length 0
		.amdhsa_user_sgpr_kernarg_preload_offset 0
		.amdhsa_user_sgpr_private_segment_size 0
		.amdhsa_uses_dynamic_stack 0
		.amdhsa_system_sgpr_private_segment_wavefront_offset 0
		.amdhsa_system_sgpr_workgroup_id_x 1
		.amdhsa_system_sgpr_workgroup_id_y 1
		.amdhsa_system_sgpr_workgroup_id_z 1
		.amdhsa_system_sgpr_workgroup_info 0
		.amdhsa_system_vgpr_workitem_id 0
		.amdhsa_next_free_vgpr 62
		.amdhsa_next_free_sgpr 67
		.amdhsa_accum_offset 64
		.amdhsa_reserve_vcc 1
		.amdhsa_reserve_flat_scratch 0
		.amdhsa_float_round_mode_32 0
		.amdhsa_float_round_mode_16_64 0
		.amdhsa_float_denorm_mode_32 3
		.amdhsa_float_denorm_mode_16_64 3
		.amdhsa_dx10_clamp 1
		.amdhsa_ieee_mode 1
		.amdhsa_fp16_overflow 0
		.amdhsa_tg_split 0
		.amdhsa_exception_fp_ieee_invalid_op 0
		.amdhsa_exception_fp_denorm_src 0
		.amdhsa_exception_fp_ieee_div_zero 0
		.amdhsa_exception_fp_ieee_overflow 0
		.amdhsa_exception_fp_ieee_underflow 0
		.amdhsa_exception_fp_ieee_inexact 0
		.amdhsa_exception_int_div_zero 0
	.end_amdhsa_kernel
	.text
.Lfunc_end1:
	.size	_Z28moe_mlp2_scatter_mfma_kernelPKiiiPKfS0_S2_PfPK14__hip_bfloat16S6_iixx, .Lfunc_end1-_Z28moe_mlp2_scatter_mfma_kernelPKiiiPKfS0_S2_PfPK14__hip_bfloat16S6_iixx
                                        ; -- End function
	.section	.AMDGPU.csdata,"",@progbits
; Kernel info:
; codeLenInByte = 6008
; NumSgprs: 71
; NumVgprs: 62
; NumAgprs: 0
; TotalNumVgprs: 62
; ScratchSize: 0
; MemoryBound: 0
; FloatMode: 240
; IeeeMode: 1
; LDSByteSize: 17408 bytes/workgroup (compile time only)
; SGPRBlocks: 8
; VGPRBlocks: 7
; NumSGPRsForWavesPerEU: 71
; NumVGPRsForWavesPerEU: 62
; AccumOffset: 64
; Occupancy: 8
; WaveLimiterHint : 1
; COMPUTE_PGM_RSRC2:SCRATCH_EN: 0
; COMPUTE_PGM_RSRC2:USER_SGPR: 6
; COMPUTE_PGM_RSRC2:TRAP_HANDLER: 0
; COMPUTE_PGM_RSRC2:TGID_X_EN: 1
; COMPUTE_PGM_RSRC2:TGID_Y_EN: 1
; COMPUTE_PGM_RSRC2:TGID_Z_EN: 1
; COMPUTE_PGM_RSRC2:TIDIG_COMP_CNT: 0
; COMPUTE_PGM_RSRC3_GFX90A:ACCUM_OFFSET: 15
; COMPUTE_PGM_RSRC3_GFX90A:TG_SPLIT: 0
	.text
	.protected	_Z26moe_mlp2_store_mfma_kernelPKiiiPKfS2_PfPK14__hip_bfloat16S6_iixx ; -- Begin function _Z26moe_mlp2_store_mfma_kernelPKiiiPKfS2_PfPK14__hip_bfloat16S6_iixx
	.globl	_Z26moe_mlp2_store_mfma_kernelPKiiiPKfS2_PfPK14__hip_bfloat16S6_iixx
	.p2align	8
	.type	_Z26moe_mlp2_store_mfma_kernelPKiiiPKfS2_PfPK14__hip_bfloat16S6_iixx,@function
_Z26moe_mlp2_store_mfma_kernelPKiiiPKfS2_PfPK14__hip_bfloat16S6_iixx: ; @_Z26moe_mlp2_store_mfma_kernelPKiiiPKfS2_PfPK14__hip_bfloat16S6_iixx
; %bb.0:
	s_load_dwordx2 s[0:1], s[4:5], 0x8
	s_waitcnt lgkmcnt(0)
	s_cmp_ge_i32 s8, s1
	s_cbranch_scc1 .LBB2_152
; %bb.1:
	s_load_dwordx2 s[2:3], s[4:5], 0x0
	s_load_dwordx2 s[28:29], s[4:5], 0x38
	s_add_i32 s0, s8, s0
	s_mul_i32 s0, s0, 3
	s_ashr_i32 s1, s0, 31
	s_lshl_b64 s[0:1], s[0:1], 2
	s_waitcnt lgkmcnt(0)
	s_add_u32 s2, s2, s0
	s_addc_u32 s3, s3, s1
	s_load_dwordx2 s[30:31], s[2:3], 0x4
	s_cmp_eq_u32 s29, 0
	s_cselect_b64 s[0:1], -1, 0
	s_waitcnt lgkmcnt(0)
	s_cmp_eq_u32 s31, 0
	s_cselect_b64 s[8:9], -1, 0
	s_or_b64 s[0:1], s[0:1], s[8:9]
	s_cmp_eq_u32 s28, 0
	s_cselect_b64 s[8:9], -1, 0
	s_or_b64 s[0:1], s[8:9], s[0:1]
	s_and_b64 vcc, exec, s[0:1]
	s_cbranch_vccnz .LBB2_152
; %bb.2:
	s_load_dword s36, s[2:3], 0x0
	s_load_dwordx2 s[0:1], s[4:5], 0x30
	s_load_dwordx4 s[12:15], s[4:5], 0x40
	s_mov_b64 s[8:9], 0
	s_waitcnt lgkmcnt(0)
	s_ashr_i32 s37, s36, 31
	s_cmp_eq_u64 s[0:1], 0
	s_cbranch_scc1 .LBB2_4
; %bb.3:
	s_mul_i32 s2, s36, s15
	s_mul_hi_u32 s3, s36, s14
	s_add_i32 s2, s3, s2
	s_mul_i32 s3, s37, s14
	s_add_i32 s3, s2, s3
	s_mul_i32 s2, s36, s14
	s_lshl_b64 s[2:3], s[2:3], 1
	s_add_u32 s8, s0, s2
	s_addc_u32 s9, s1, s3
.LBB2_4:
	s_lshl_b32 s52, s7, 8
	s_cmp_lt_i32 s52, s29
	s_cselect_b64 s[0:1], -1, 0
	s_lshl_b32 s51, s6, 6
	s_cmp_lt_i32 s51, s31
	s_cselect_b64 s[2:3], -1, 0
	s_and_b64 s[0:1], s[0:1], s[2:3]
	s_andn2_b64 vcc, exec, s[0:1]
	s_cbranch_vccnz .LBB2_152
; %bb.5:
	v_lshrrev_b32_e32 v2, 2, v0
	v_and_b32_e32 v1, 0xf0, v2
	v_or_b32_e32 v6, s52, v1
	v_and_b32_e32 v46, 12, v2
	s_mov_b32 s16, 0
	v_or_b32_e32 v30, v6, v46
	s_cmp_lg_u64 s[8:9], 0
	s_mov_b32 s17, s16
	s_cselect_b64 s[10:11], -1, 0
	v_cmp_gt_i32_e64 s[0:1], s29, v30
	s_mov_b32 s18, s16
	s_mov_b32 s19, s16
	v_pk_mov_b32 v[2:3], s[16:17], s[16:17] op_sel:[0,1]
	s_and_b64 s[14:15], s[10:11], s[0:1]
	v_pk_mov_b32 v[4:5], s[18:19], s[18:19] op_sel:[0,1]
	s_and_saveexec_b64 s[2:3], s[14:15]
	s_cbranch_execz .LBB2_7
; %bb.6:
	v_ashrrev_i32_e32 v31, 31, v30
	v_lshlrev_b64 v[2:3], 1, v[30:31]
	v_mov_b32_e32 v4, s9
	v_add_co_u32_e32 v2, vcc, s8, v2
	v_addc_co_u32_e32 v3, vcc, v4, v3, vcc
	flat_load_ushort v2, v[2:3]
	v_mov_b32_e32 v3, 0
	v_mov_b32_e32 v4, v3
	;; [unrolled: 1-line block ×3, first 2 shown]
	s_waitcnt vmcnt(0) lgkmcnt(0)
	v_lshlrev_b32_e32 v2, 16, v2
.LBB2_7:
	s_or_b64 exec, exec, s[2:3]
	v_or_b32_e32 v7, 1, v30
	v_cmp_gt_i32_e64 s[2:3], s29, v7
	s_and_b64 s[16:17], s[10:11], s[2:3]
	s_and_saveexec_b64 s[14:15], s[16:17]
	s_cbranch_execz .LBB2_9
; %bb.8:
	v_ashrrev_i32_e32 v31, 31, v30
	v_lshlrev_b64 v[8:9], 1, v[30:31]
	v_mov_b32_e32 v3, s9
	v_add_co_u32_e32 v8, vcc, s8, v8
	v_addc_co_u32_e32 v9, vcc, v3, v9, vcc
	flat_load_ushort v3, v[8:9] offset:2
	s_waitcnt vmcnt(0) lgkmcnt(0)
	v_lshlrev_b32_e32 v3, 16, v3
.LBB2_9:
	s_or_b64 exec, exec, s[14:15]
	v_or_b32_e32 v7, 2, v30
	v_cmp_gt_i32_e64 s[14:15], s29, v7
	s_and_b64 s[18:19], s[10:11], s[14:15]
	s_and_saveexec_b64 s[16:17], s[18:19]
	s_cbranch_execz .LBB2_11
; %bb.10:
	v_ashrrev_i32_e32 v31, 31, v30
	v_lshlrev_b64 v[8:9], 1, v[30:31]
	v_mov_b32_e32 v4, s9
	v_add_co_u32_e32 v8, vcc, s8, v8
	v_addc_co_u32_e32 v9, vcc, v4, v9, vcc
	flat_load_ushort v4, v[8:9] offset:4
	s_waitcnt vmcnt(0) lgkmcnt(0)
	v_lshlrev_b32_e32 v4, 16, v4
.LBB2_11:
	s_or_b64 exec, exec, s[16:17]
	v_or_b32_e32 v7, 3, v30
	v_cmp_gt_i32_e32 vcc, s29, v7
	v_cmp_le_i32_e64 s[18:19], s29, v7
	s_and_b64 s[16:17], s[10:11], vcc
	s_and_saveexec_b64 s[10:11], s[16:17]
	s_cbranch_execz .LBB2_13
; %bb.12:
	v_ashrrev_i32_e32 v31, 31, v30
	v_lshlrev_b64 v[8:9], 1, v[30:31]
	v_mov_b32_e32 v5, s9
	v_add_co_u32_e32 v8, vcc, s8, v8
	v_addc_co_u32_e32 v9, vcc, v5, v9, vcc
	flat_load_ushort v5, v[8:9] offset:6
	s_waitcnt vmcnt(0) lgkmcnt(0)
	v_lshlrev_b32_e32 v5, 16, v5
.LBB2_13:
	s_or_b64 exec, exec, s[10:11]
	s_add_i32 s7, s31, 63
	s_ashr_i32 s8, s7, 31
	s_lshr_b32 s8, s8, 26
	s_add_i32 s7, s7, s8
	s_ashr_i32 s7, s7, 6
	s_add_i32 s8, s31, -1
	s_cmp_lt_u32 s8, 0xffffff81
	s_cselect_b64 s[8:9], -1, 0
	s_cmp_lt_i32 s6, s7
	s_cselect_b64 s[10:11], -1, 0
	s_and_b64 s[8:9], s[8:9], s[10:11]
	s_and_b64 vcc, exec, s[8:9]
	s_cbranch_vccz .LBB2_152
; %bb.14:
	s_load_dwordx8 s[20:27], s[4:5], 0x10
	s_add_i32 s8, s28, 63
	s_ashr_i32 s9, s8, 31
	s_lshr_b32 s9, s9, 26
	s_add_i32 s8, s8, s9
	s_mul_hi_i32 s11, s30, s28
	s_mul_i32 s10, s30, s28
	s_ashr_i32 s33, s8, 6
	s_ashr_i32 s9, s30, 31
	;; [unrolled: 1-line block ×3, first 2 shown]
	s_lshl_b64 s[10:11], s[10:11], 2
	s_mov_b32 s8, s30
	s_waitcnt lgkmcnt(0)
	s_add_u32 s10, s20, s10
	s_addc_u32 s11, s21, s11
	s_lshl_b64 s[34:35], s[8:9], 2
	s_add_u32 s40, s22, s34
	s_mul_hi_i32 s9, s30, s29
	s_mul_i32 s8, s30, s29
	s_addc_u32 s41, s23, s35
	s_lshl_b64 s[8:9], s[8:9], 2
	v_lshlrev_b32_e32 v7, 2, v0
	s_add_u32 s30, s24, s8
	v_and_b32_e32 v8, 60, v7
	v_and_b32_e32 v47, 15, v0
	s_addc_u32 s43, s25, s9
	v_lshlrev_b32_e32 v7, 2, v8
	v_lshrrev_b32_e32 v48, 4, v0
	v_add_co_u32_e32 v49, vcc, s10, v7
	s_movk_i32 s10, 0x44
	s_cmp_gt_i32 s28, 0
	v_or_b32_e32 v6, v6, v47
	s_mov_b32 s42, s29
	v_mov_b32_e32 v9, s11
	v_mad_u32_u24 v51, v48, s10, v8
	s_cselect_b64 s[22:23], -1, 0
	v_cmp_gt_i32_e64 s[10:11], s29, v6
	s_load_dword s29, s[4:5], 0x50
	s_max_i32 s4, s33, 1
	s_add_u32 s44, s40, 64
	s_addc_u32 s45, s41, 0
	s_add_u32 s46, s40, 0x80
	v_addc_co_u32_e32 v50, vcc, 0, v9, vcc
	s_addc_u32 s47, s41, 0
	v_lshlrev_b32_e32 v6, 4, v47
	s_add_u32 s48, s40, 0xc0
	v_mov_b32_e32 v7, s21
	v_add_co_u32_e32 v6, vcc, s20, v6
	s_addc_u32 s49, s41, 0
	s_lshl_b32 s50, s4, 6
	v_addc_co_u32_e32 v7, vcc, 0, v7, vcc
	s_movk_i32 s4, 0x100
	v_add_co_u32_e32 v32, vcc, s4, v6
	s_mul_i32 s4, s12, s37
	s_mul_hi_u32 s5, s12, s36
	s_add_i32 s4, s5, s4
	s_mul_i32 s5, s13, s36
	v_add3_u32 v1, s52, v1, v47
	v_addc_co_u32_e32 v33, vcc, 0, v7, vcc
	s_add_i32 s5, s4, s5
	s_mul_i32 s4, s12, s36
	v_mad_i64_i32 v[6:7], s[12:13], s28, v1, 0
	s_lshl_b64 s[4:5], s[4:5], 1
	v_lshlrev_b64 v[6:7], 1, v[6:7]
	v_mov_b32_e32 v1, s5
	v_add_co_u32_e32 v6, vcc, s4, v6
	v_lshrrev_b32_e32 v0, 1, v0
	v_addc_co_u32_e32 v1, vcc, v1, v7, vcc
	v_and_b32_e32 v0, 24, v0
	v_add_co_u32_e32 v0, vcc, v6, v0
	v_addc_co_u32_e32 v1, vcc, 0, v1, vcc
	v_mov_b32_e32 v6, s27
	v_add_co_u32_e32 v0, vcc, s26, v0
	v_addc_co_u32_e32 v1, vcc, v1, v6, vcc
	s_movk_i32 s4, 0x64
	v_add_co_u32_e32 v0, vcc, s4, v0
	s_mov_b32 s39, s28
	v_cmp_gt_i32_e64 s[8:9], s28, v8
	v_lshlrev_b32_e32 v52, 1, v51
	v_ashrrev_i32_e32 v31, 31, v30
	v_mul_u32_u24_e32 v53, 0x88, v47
	v_add_u32_e32 v34, s51, v48
	s_waitcnt lgkmcnt(0)
	s_lshl_b32 s51, s29, 6
	v_addc_co_u32_e32 v1, vcc, 0, v1, vcc
	v_or_b32_e32 v54, 64, v8
	s_mov_b32 s52, 0x7f800000
	s_movk_i32 s53, 0x7fff
	s_mov_b32 s54, 0xffff
	s_mov_b32 s55, 0x7060302
	;; [unrolled: 1-line block ×3, first 2 shown]
	v_mov_b32_e32 v55, 0
	s_branch .LBB2_17
.LBB2_15:                               ;   in Loop: Header=BB2_17 Depth=1
	s_or_b64 exec, exec, s[12:13]
.LBB2_16:                               ;   in Loop: Header=BB2_17 Depth=1
	s_or_b64 exec, exec, s[4:5]
	s_add_i32 s6, s29, s6
	s_cmp_lt_i32 s6, s7
	v_add_u32_e32 v34, s51, v34
	s_waitcnt lgkmcnt(0)
	s_barrier
	s_cbranch_scc0 .LBB2_152
.LBB2_17:                               ; =>This Loop Header: Depth=1
                                        ;     Child Loop BB2_39 Depth 2
	s_lshl_b32 s24, s6, 6
	v_or_b32_e32 v8, s24, v48
	v_cmp_gt_i32_e64 s[12:13], s31, v8
	s_and_b64 s[16:17], s[12:13], s[8:9]
	v_mov_b32_e32 v7, 0
	v_mov_b32_e32 v6, 0
	s_and_saveexec_b64 s[4:5], s[16:17]
	s_cbranch_execz .LBB2_35
; %bb.18:                               ;   in Loop: Header=BB2_17 Depth=1
	v_mad_i64_i32 v[6:7], s[16:17], v8, s39, 0
	v_lshlrev_b64 v[6:7], 2, v[6:7]
	v_add_co_u32_e32 v6, vcc, v49, v6
	v_addc_co_u32_e32 v7, vcc, v50, v7, vcc
	global_load_dwordx4 v[6:9], v[6:7], off
	s_waitcnt vmcnt(0)
	v_and_b32_e32 v10, 0x7f800000, v6
	v_cmp_ne_u32_e32 vcc, s52, v10
                                        ; implicit-def: $vgpr10
	s_and_saveexec_b64 s[16:17], vcc
	s_xor_b64 s[16:17], exec, s[16:17]
; %bb.19:                               ;   in Loop: Header=BB2_17 Depth=1
	v_bfe_u32 v10, v6, 16, 1
	v_add3_u32 v10, v6, v10, s53
; %bb.20:                               ;   in Loop: Header=BB2_17 Depth=1
	s_andn2_saveexec_b64 s[16:17], s[16:17]
; %bb.21:                               ;   in Loop: Header=BB2_17 Depth=1
	v_or_b32_e32 v10, 0x10000, v6
	v_cmp_eq_u32_sdwa vcc, v6, v55 src0_sel:WORD_0 src1_sel:DWORD
	v_cndmask_b32_e32 v10, v10, v6, vcc
; %bb.22:                               ;   in Loop: Header=BB2_17 Depth=1
	s_or_b64 exec, exec, s[16:17]
	v_and_b32_e32 v6, 0x7f800000, v7
	v_cmp_ne_u32_e32 vcc, s52, v6
                                        ; implicit-def: $vgpr11
	s_and_saveexec_b64 s[16:17], vcc
	s_xor_b64 s[16:17], exec, s[16:17]
; %bb.23:                               ;   in Loop: Header=BB2_17 Depth=1
	v_bfe_u32 v6, v7, 16, 1
	v_add3_u32 v11, v7, v6, s53
; %bb.24:                               ;   in Loop: Header=BB2_17 Depth=1
	s_andn2_saveexec_b64 s[16:17], s[16:17]
; %bb.25:                               ;   in Loop: Header=BB2_17 Depth=1
	v_or_b32_e32 v6, 0x10000, v7
	v_cmp_eq_u32_sdwa vcc, v7, v55 src0_sel:WORD_0 src1_sel:DWORD
	v_cndmask_b32_e32 v11, v6, v7, vcc
; %bb.26:                               ;   in Loop: Header=BB2_17 Depth=1
	s_or_b64 exec, exec, s[16:17]
	v_and_b32_e32 v6, 0x7f800000, v8
	v_cmp_ne_u32_e32 vcc, s52, v6
                                        ; implicit-def: $vgpr12
	s_and_saveexec_b64 s[16:17], vcc
	s_xor_b64 s[16:17], exec, s[16:17]
; %bb.27:                               ;   in Loop: Header=BB2_17 Depth=1
	v_bfe_u32 v6, v8, 16, 1
	v_add3_u32 v12, v8, v6, s53
; %bb.28:                               ;   in Loop: Header=BB2_17 Depth=1
	s_andn2_saveexec_b64 s[16:17], s[16:17]
; %bb.29:                               ;   in Loop: Header=BB2_17 Depth=1
	v_or_b32_e32 v6, 0x10000, v8
	v_cmp_eq_u32_sdwa vcc, v8, v55 src0_sel:WORD_0 src1_sel:DWORD
	v_cndmask_b32_e32 v12, v6, v8, vcc
; %bb.30:                               ;   in Loop: Header=BB2_17 Depth=1
	s_or_b64 exec, exec, s[16:17]
	v_and_b32_e32 v6, 0x7f800000, v9
	v_cmp_ne_u32_e32 vcc, s52, v6
                                        ; implicit-def: $vgpr13
	s_and_saveexec_b64 s[16:17], vcc
	s_xor_b64 s[16:17], exec, s[16:17]
; %bb.31:                               ;   in Loop: Header=BB2_17 Depth=1
	v_bfe_u32 v6, v9, 16, 1
	v_add3_u32 v13, v9, v6, s53
                                        ; implicit-def: $vgpr6_vgpr7_vgpr8_vgpr9
; %bb.32:                               ;   in Loop: Header=BB2_17 Depth=1
	s_andn2_saveexec_b64 s[16:17], s[16:17]
; %bb.33:                               ;   in Loop: Header=BB2_17 Depth=1
	v_or_b32_e32 v6, 0x10000, v9
	v_cmp_eq_u32_sdwa vcc, v9, v55 src0_sel:WORD_0 src1_sel:DWORD
	v_cndmask_b32_e32 v13, v6, v9, vcc
; %bb.34:                               ;   in Loop: Header=BB2_17 Depth=1
	s_or_b64 exec, exec, s[16:17]
	v_perm_b32 v6, v11, v10, s55
	v_perm_b32 v7, v13, v12, s55
.LBB2_35:                               ;   in Loop: Header=BB2_17 Depth=1
	s_or_b64 exec, exec, s[4:5]
	ds_write_b64 v52, v[6:7]
	v_pk_mov_b32 v[20:21], v[4:5], v[4:5] op_sel:[0,1]
	v_pk_mov_b32 v[16:17], v[4:5], v[4:5] op_sel:[0,1]
	v_pk_mov_b32 v[12:13], v[4:5], v[4:5] op_sel:[0,1]
	v_pk_mov_b32 v[8:9], v[4:5], v[4:5] op_sel:[0,1]
	s_andn2_b64 vcc, exec, s[22:23]
	v_pk_mov_b32 v[18:19], v[2:3], v[2:3] op_sel:[0,1]
	v_pk_mov_b32 v[14:15], v[2:3], v[2:3] op_sel:[0,1]
	;; [unrolled: 1-line block ×4, first 2 shown]
	s_waitcnt lgkmcnt(0)
	s_barrier
	s_cbranch_vccnz .LBB2_106
; %bb.36:                               ;   in Loop: Header=BB2_17 Depth=1
	v_ashrrev_i32_e32 v35, 31, v34
	v_lshlrev_b64 v[6:7], 2, v[34:35]
	v_mov_b32_e32 v8, s35
	v_add_co_u32_e32 v6, vcc, s34, v6
	v_addc_co_u32_e32 v7, vcc, v8, v7, vcc
	v_mul_lo_u32 v7, s39, v7
	v_mul_lo_u32 v8, s38, v6
	s_waitcnt vmcnt(0)
	v_mad_u64_u32 v[36:37], s[4:5], s39, v6, v[32:33]
	v_add3_u32 v37, v8, v37, v7
	v_pk_mov_b32 v[20:21], v[4:5], v[4:5] op_sel:[0,1]
	v_pk_mov_b32 v[16:17], v[4:5], v[4:5] op_sel:[0,1]
	;; [unrolled: 1-line block ×4, first 2 shown]
	s_mov_b32 s25, 0
	s_mov_b32 s26, 1
	v_pk_mov_b32 v[38:39], v[0:1], v[0:1] op_sel:[0,1]
	v_pk_mov_b32 v[18:19], v[2:3], v[2:3] op_sel:[0,1]
	v_pk_mov_b32 v[14:15], v[2:3], v[2:3] op_sel:[0,1]
	v_pk_mov_b32 v[10:11], v[2:3], v[2:3] op_sel:[0,1]
	v_pk_mov_b32 v[6:7], v[2:3], v[2:3] op_sel:[0,1]
	s_branch .LBB2_39
.LBB2_37:                               ;   in Loop: Header=BB2_39 Depth=2
	s_or_b64 exec, exec, s[16:17]
.LBB2_38:                               ;   in Loop: Header=BB2_39 Depth=2
	s_or_b64 exec, exec, s[4:5]
	s_nop 1
	ds_read_b64 v[14:15], v56 offset:96
	ds_read_b64 v[16:17], v42 offset:96
	;; [unrolled: 1-line block ×4, first 2 shown]
	v_add_co_u32_e32 v36, vcc, 0x100, v36
	s_waitcnt vmcnt(0) lgkmcnt(3)
	v_mfma_f32_16x16x16bf16_1k v[18:21], v[40:41], v[14:15], v[22:25]
	v_addc_co_u32_e32 v37, vcc, 0, v37, vcc
	s_add_i32 s25, s25, 64
	s_add_i32 s26, s26, 1
	v_add_co_u32_e32 v38, vcc, 0x80, v38
	v_addc_co_u32_e32 v39, vcc, 0, v39, vcc
	s_waitcnt lgkmcnt(2)
	v_mfma_f32_16x16x16bf16_1k v[14:17], v[40:41], v[16:17], v[26:29]
	s_cmp_eq_u32 s50, s25
	s_waitcnt lgkmcnt(0)
	s_barrier
	v_mfma_f32_16x16x16bf16_1k v[10:13], v[40:41], v[42:43], v[10:13]
	v_mfma_f32_16x16x16bf16_1k v[6:9], v[40:41], v[44:45], v[6:9]
	s_cbranch_scc1 .LBB2_106
.LBB2_39:                               ;   Parent Loop BB2_17 Depth=1
                                        ; =>  This Inner Loop Header: Depth=2
	s_add_i32 s4, s26, -1
	s_and_b32 s27, s4, 1
	s_cmp_ge_i32 s26, s33
	s_cbranch_scc1 .LBB2_59
; %bb.40:                               ;   in Loop: Header=BB2_39 Depth=2
	v_add_u32_e32 v22, s25, v54
	v_cmp_gt_i32_e32 vcc, s28, v22
	s_and_b64 s[16:17], s[12:13], vcc
	v_mov_b32_e32 v23, 0
	v_mov_b32_e32 v22, 0
	s_and_saveexec_b64 s[4:5], s[16:17]
	s_cbranch_execz .LBB2_58
; %bb.41:                               ;   in Loop: Header=BB2_39 Depth=2
	global_load_dwordx4 v[22:25], v[36:37], off
	s_waitcnt vmcnt(0)
	v_and_b32_e32 v26, 0x7f800000, v22
	v_cmp_ne_u32_e32 vcc, s52, v26
                                        ; implicit-def: $vgpr26
	s_and_saveexec_b64 s[16:17], vcc
	s_xor_b64 s[16:17], exec, s[16:17]
; %bb.42:                               ;   in Loop: Header=BB2_39 Depth=2
	v_bfe_u32 v26, v22, 16, 1
	v_add3_u32 v26, v22, v26, s53
; %bb.43:                               ;   in Loop: Header=BB2_39 Depth=2
	s_andn2_saveexec_b64 s[16:17], s[16:17]
; %bb.44:                               ;   in Loop: Header=BB2_39 Depth=2
	v_or_b32_e32 v26, 0x10000, v22
	v_cmp_eq_u32_sdwa vcc, v22, v55 src0_sel:WORD_0 src1_sel:DWORD
	v_cndmask_b32_e32 v26, v26, v22, vcc
; %bb.45:                               ;   in Loop: Header=BB2_39 Depth=2
	s_or_b64 exec, exec, s[16:17]
	v_and_b32_e32 v22, 0x7f800000, v23
	v_cmp_ne_u32_e32 vcc, s52, v22
                                        ; implicit-def: $vgpr27
	s_and_saveexec_b64 s[16:17], vcc
	s_xor_b64 s[16:17], exec, s[16:17]
; %bb.46:                               ;   in Loop: Header=BB2_39 Depth=2
	v_bfe_u32 v22, v23, 16, 1
	v_add3_u32 v27, v23, v22, s53
; %bb.47:                               ;   in Loop: Header=BB2_39 Depth=2
	s_andn2_saveexec_b64 s[16:17], s[16:17]
; %bb.48:                               ;   in Loop: Header=BB2_39 Depth=2
	v_or_b32_e32 v22, 0x10000, v23
	v_cmp_eq_u32_sdwa vcc, v23, v55 src0_sel:WORD_0 src1_sel:DWORD
	v_cndmask_b32_e32 v27, v22, v23, vcc
; %bb.49:                               ;   in Loop: Header=BB2_39 Depth=2
	s_or_b64 exec, exec, s[16:17]
	v_and_b32_e32 v22, 0x7f800000, v24
	v_cmp_ne_u32_e32 vcc, s52, v22
                                        ; implicit-def: $vgpr28
	s_and_saveexec_b64 s[16:17], vcc
	s_xor_b64 s[16:17], exec, s[16:17]
; %bb.50:                               ;   in Loop: Header=BB2_39 Depth=2
	v_bfe_u32 v22, v24, 16, 1
	v_add3_u32 v28, v24, v22, s53
; %bb.51:                               ;   in Loop: Header=BB2_39 Depth=2
	s_andn2_saveexec_b64 s[16:17], s[16:17]
; %bb.52:                               ;   in Loop: Header=BB2_39 Depth=2
	v_or_b32_e32 v22, 0x10000, v24
	v_cmp_eq_u32_sdwa vcc, v24, v55 src0_sel:WORD_0 src1_sel:DWORD
	v_cndmask_b32_e32 v28, v22, v24, vcc
; %bb.53:                               ;   in Loop: Header=BB2_39 Depth=2
	s_or_b64 exec, exec, s[16:17]
	v_and_b32_e32 v22, 0x7f800000, v25
	v_cmp_ne_u32_e32 vcc, s52, v22
                                        ; implicit-def: $vgpr29
	s_and_saveexec_b64 s[16:17], vcc
	s_xor_b64 s[16:17], exec, s[16:17]
; %bb.54:                               ;   in Loop: Header=BB2_39 Depth=2
	v_bfe_u32 v22, v25, 16, 1
	v_add3_u32 v29, v25, v22, s53
                                        ; implicit-def: $vgpr22_vgpr23_vgpr24_vgpr25
; %bb.55:                               ;   in Loop: Header=BB2_39 Depth=2
	s_andn2_saveexec_b64 s[16:17], s[16:17]
; %bb.56:                               ;   in Loop: Header=BB2_39 Depth=2
	v_or_b32_e32 v22, 0x10000, v25
	v_cmp_eq_u32_sdwa vcc, v25, v55 src0_sel:WORD_0 src1_sel:DWORD
	v_cndmask_b32_e32 v29, v22, v25, vcc
; %bb.57:                               ;   in Loop: Header=BB2_39 Depth=2
	s_or_b64 exec, exec, s[16:17]
	v_perm_b32 v22, v27, v26, s55
	v_perm_b32 v23, v29, v28, s55
.LBB2_58:                               ;   in Loop: Header=BB2_39 Depth=2
	s_or_b64 exec, exec, s[4:5]
	s_xor_b32 s4, s27, 1
	s_mulk_i32 s4, 0x2200
	v_lshl_add_u32 v24, v51, 1, s4
	ds_write_b64 v24, v[22:23]
.LBB2_59:                               ;   in Loop: Header=BB2_39 Depth=2
	v_add_u32_e32 v35, s25, v46
	v_mov_b32_e32 v42, 0
	v_mov_b32_e32 v40, 0
	;; [unrolled: 1-line block ×3, first 2 shown]
	s_and_saveexec_b64 s[4:5], s[10:11]
	s_cbranch_execz .LBB2_71
; %bb.60:                               ;   in Loop: Header=BB2_39 Depth=2
	v_add_u32_e32 v22, 3, v35
	v_cmp_le_i32_e32 vcc, s28, v22
                                        ; implicit-def: $vgpr41
	s_and_saveexec_b64 s[16:17], vcc
	s_xor_b64 s[16:17], exec, s[16:17]
	s_cbranch_execz .LBB2_68
; %bb.61:                               ;   in Loop: Header=BB2_39 Depth=2
	v_cmp_gt_i32_e32 vcc, s28, v35
	v_mov_b32_e32 v41, 0
	v_mov_b32_e32 v40, 0
	s_and_saveexec_b64 s[20:21], vcc
	s_cbranch_execz .LBB2_63
; %bb.62:                               ;   in Loop: Header=BB2_39 Depth=2
	global_load_ushort v22, v[38:39], off offset:-100
	s_waitcnt vmcnt(0)
	v_and_b32_e32 v40, 0xffff, v22
.LBB2_63:                               ;   in Loop: Header=BB2_39 Depth=2
	s_or_b64 exec, exec, s[20:21]
	v_add_u32_e32 v22, 1, v35
	v_cmp_gt_i32_e32 vcc, s28, v22
	s_and_saveexec_b64 s[20:21], vcc
	s_cbranch_execz .LBB2_65
; %bb.64:                               ;   in Loop: Header=BB2_39 Depth=2
	global_load_ushort v22, v[38:39], off offset:-98
	s_waitcnt vmcnt(0)
	v_perm_b32 v40, v22, v40, s56
.LBB2_65:                               ;   in Loop: Header=BB2_39 Depth=2
	s_or_b64 exec, exec, s[20:21]
	v_add_u32_e32 v22, 2, v35
	v_cmp_gt_i32_e32 vcc, s28, v22
	s_and_saveexec_b64 s[20:21], vcc
	s_cbranch_execz .LBB2_67
; %bb.66:                               ;   in Loop: Header=BB2_39 Depth=2
	global_load_ushort v22, v[38:39], off offset:-96
	s_waitcnt vmcnt(0)
	v_bfi_b32 v41, s54, v22, v41
.LBB2_67:                               ;   in Loop: Header=BB2_39 Depth=2
	s_or_b64 exec, exec, s[20:21]
.LBB2_68:                               ;   in Loop: Header=BB2_39 Depth=2
	s_andn2_saveexec_b64 s[16:17], s[16:17]
	s_cbranch_execz .LBB2_70
; %bb.69:                               ;   in Loop: Header=BB2_39 Depth=2
	global_load_dwordx2 v[40:41], v[38:39], off offset:-100
.LBB2_70:                               ;   in Loop: Header=BB2_39 Depth=2
	s_or_b64 exec, exec, s[16:17]
.LBB2_71:                               ;   in Loop: Header=BB2_39 Depth=2
	s_or_b64 exec, exec, s[4:5]
	s_mulk_i32 s27, 0x2200
	v_add_u32_e32 v22, s27, v53
	v_lshl_add_u32 v56, v46, 1, v22
	ds_read_b64 v[22:23], v56
	ds_read_b64 v[26:27], v56 offset:2176
	ds_read_b64 v[28:29], v56 offset:4352
	;; [unrolled: 1-line block ×3, first 2 shown]
	v_mov_b32_e32 v43, 0
	s_waitcnt vmcnt(0) lgkmcnt(3)
	v_mfma_f32_16x16x16bf16_1k v[22:25], v[40:41], v[22:23], v[18:21]
	s_waitcnt lgkmcnt(2)
	v_mfma_f32_16x16x16bf16_1k v[14:17], v[40:41], v[26:27], v[14:17]
	s_waitcnt lgkmcnt(1)
	;; [unrolled: 2-line block ×3, first 2 shown]
	v_mfma_f32_16x16x16bf16_1k v[18:21], v[40:41], v[44:45], v[6:9]
	s_and_saveexec_b64 s[4:5], s[10:11]
	s_cbranch_execz .LBB2_83
; %bb.72:                               ;   in Loop: Header=BB2_39 Depth=2
	s_nop 4
	v_add_u32_e32 v6, 19, v35
	v_cmp_le_i32_e32 vcc, s28, v6
                                        ; implicit-def: $vgpr43
	s_and_saveexec_b64 s[16:17], vcc
	s_xor_b64 s[16:17], exec, s[16:17]
	s_cbranch_execz .LBB2_80
; %bb.73:                               ;   in Loop: Header=BB2_39 Depth=2
	v_add_u32_e32 v6, 16, v35
	v_cmp_gt_i32_e32 vcc, s28, v6
	v_mov_b32_e32 v43, 0
	v_mov_b32_e32 v42, 0
	s_and_saveexec_b64 s[20:21], vcc
	s_cbranch_execz .LBB2_75
; %bb.74:                               ;   in Loop: Header=BB2_39 Depth=2
	global_load_ushort v6, v[38:39], off offset:-68
	s_waitcnt vmcnt(0)
	v_and_b32_e32 v42, 0xffff, v6
.LBB2_75:                               ;   in Loop: Header=BB2_39 Depth=2
	s_or_b64 exec, exec, s[20:21]
	v_add_u32_e32 v6, 17, v35
	v_cmp_gt_i32_e32 vcc, s28, v6
	s_and_saveexec_b64 s[20:21], vcc
	s_cbranch_execz .LBB2_77
; %bb.76:                               ;   in Loop: Header=BB2_39 Depth=2
	global_load_ushort v6, v[38:39], off offset:-66
	s_waitcnt vmcnt(0)
	v_perm_b32 v42, v6, v42, s56
.LBB2_77:                               ;   in Loop: Header=BB2_39 Depth=2
	s_or_b64 exec, exec, s[20:21]
	v_add_u32_e32 v6, 18, v35
	v_cmp_gt_i32_e32 vcc, s28, v6
	s_and_saveexec_b64 s[20:21], vcc
	s_cbranch_execz .LBB2_79
; %bb.78:                               ;   in Loop: Header=BB2_39 Depth=2
	global_load_ushort v6, v[38:39], off offset:-64
	s_waitcnt vmcnt(0)
	v_bfi_b32 v43, s54, v6, v43
.LBB2_79:                               ;   in Loop: Header=BB2_39 Depth=2
	s_or_b64 exec, exec, s[20:21]
.LBB2_80:                               ;   in Loop: Header=BB2_39 Depth=2
	s_andn2_saveexec_b64 s[16:17], s[16:17]
	s_cbranch_execz .LBB2_82
; %bb.81:                               ;   in Loop: Header=BB2_39 Depth=2
	global_load_dwordx2 v[42:43], v[38:39], off offset:-68
.LBB2_82:                               ;   in Loop: Header=BB2_39 Depth=2
	s_or_b64 exec, exec, s[16:17]
.LBB2_83:                               ;   in Loop: Header=BB2_39 Depth=2
	s_or_b64 exec, exec, s[4:5]
	s_nop 3
	ds_read_b64 v[6:7], v56 offset:32
	ds_read_b64 v[10:11], v56 offset:2208
	;; [unrolled: 1-line block ×4, first 2 shown]
	v_mov_b32_e32 v44, 0
	s_waitcnt vmcnt(0) lgkmcnt(3)
	v_mfma_f32_16x16x16bf16_1k v[6:9], v[42:43], v[6:7], v[22:25]
	v_mov_b32_e32 v45, 0
	s_waitcnt lgkmcnt(2)
	v_mfma_f32_16x16x16bf16_1k v[10:13], v[42:43], v[10:11], v[14:17]
	s_waitcnt lgkmcnt(1)
	v_mfma_f32_16x16x16bf16_1k v[14:17], v[42:43], v[40:41], v[26:29]
	v_mov_b32_e32 v40, 0
	s_waitcnt lgkmcnt(0)
	v_mfma_f32_16x16x16bf16_1k v[18:21], v[42:43], v[58:59], v[18:21]
	s_and_saveexec_b64 s[4:5], s[10:11]
	s_cbranch_execz .LBB2_95
; %bb.84:                               ;   in Loop: Header=BB2_39 Depth=2
	v_add_u32_e32 v22, 35, v35
	v_cmp_le_i32_e32 vcc, s28, v22
                                        ; implicit-def: $vgpr45
	s_and_saveexec_b64 s[16:17], vcc
	s_xor_b64 s[16:17], exec, s[16:17]
	s_cbranch_execz .LBB2_92
; %bb.85:                               ;   in Loop: Header=BB2_39 Depth=2
	v_add_u32_e32 v22, 32, v35
	v_cmp_gt_i32_e32 vcc, s28, v22
	v_mov_b32_e32 v45, 0
	v_mov_b32_e32 v44, 0
	s_and_saveexec_b64 s[20:21], vcc
	s_cbranch_execz .LBB2_87
; %bb.86:                               ;   in Loop: Header=BB2_39 Depth=2
	global_load_ushort v22, v[38:39], off offset:-36
	s_waitcnt vmcnt(0)
	v_and_b32_e32 v44, 0xffff, v22
.LBB2_87:                               ;   in Loop: Header=BB2_39 Depth=2
	s_or_b64 exec, exec, s[20:21]
	v_add_u32_e32 v22, 33, v35
	v_cmp_gt_i32_e32 vcc, s28, v22
	s_and_saveexec_b64 s[20:21], vcc
	s_cbranch_execz .LBB2_89
; %bb.88:                               ;   in Loop: Header=BB2_39 Depth=2
	global_load_ushort v22, v[38:39], off offset:-34
	s_waitcnt vmcnt(0)
	v_perm_b32 v44, v22, v44, s56
.LBB2_89:                               ;   in Loop: Header=BB2_39 Depth=2
	s_or_b64 exec, exec, s[20:21]
	v_add_u32_e32 v22, 34, v35
	v_cmp_gt_i32_e32 vcc, s28, v22
	s_and_saveexec_b64 s[20:21], vcc
	s_cbranch_execz .LBB2_91
; %bb.90:                               ;   in Loop: Header=BB2_39 Depth=2
	global_load_ushort v22, v[38:39], off offset:-32
	s_waitcnt vmcnt(0)
	v_bfi_b32 v45, s54, v22, v45
.LBB2_91:                               ;   in Loop: Header=BB2_39 Depth=2
	s_or_b64 exec, exec, s[20:21]
.LBB2_92:                               ;   in Loop: Header=BB2_39 Depth=2
	s_andn2_saveexec_b64 s[16:17], s[16:17]
	s_cbranch_execz .LBB2_94
; %bb.93:                               ;   in Loop: Header=BB2_39 Depth=2
	global_load_dwordx2 v[44:45], v[38:39], off offset:-36
.LBB2_94:                               ;   in Loop: Header=BB2_39 Depth=2
	s_or_b64 exec, exec, s[16:17]
.LBB2_95:                               ;   in Loop: Header=BB2_39 Depth=2
	s_or_b64 exec, exec, s[4:5]
	v_add_u32_e32 v42, 0x880, v56
	v_add_u32_e32 v43, 0x1100, v56
	ds_read_b64 v[22:23], v56 offset:64
	v_add_u32_e32 v57, 0x1980, v56
	ds_read_b64 v[26:27], v42 offset:64
	ds_read_b64 v[58:59], v43 offset:64
	;; [unrolled: 1-line block ×3, first 2 shown]
	s_waitcnt vmcnt(0) lgkmcnt(3)
	v_mfma_f32_16x16x16bf16_1k v[22:25], v[44:45], v[22:23], v[6:9]
	v_mov_b32_e32 v41, 0
	s_waitcnt lgkmcnt(2)
	v_mfma_f32_16x16x16bf16_1k v[26:29], v[44:45], v[26:27], v[10:13]
	s_waitcnt lgkmcnt(1)
	v_mfma_f32_16x16x16bf16_1k v[10:13], v[44:45], v[58:59], v[14:17]
	;; [unrolled: 2-line block ×3, first 2 shown]
	s_and_saveexec_b64 s[4:5], s[10:11]
	s_cbranch_execz .LBB2_38
; %bb.96:                               ;   in Loop: Header=BB2_39 Depth=2
	s_nop 2
	v_add_u32_e32 v14, 51, v35
	v_cmp_le_i32_e32 vcc, s28, v14
                                        ; implicit-def: $vgpr41
	s_and_saveexec_b64 s[16:17], vcc
	s_xor_b64 s[16:17], exec, s[16:17]
	s_cbranch_execz .LBB2_104
; %bb.97:                               ;   in Loop: Header=BB2_39 Depth=2
	v_add_u32_e32 v14, 48, v35
	v_cmp_gt_i32_e32 vcc, s28, v14
	v_mov_b32_e32 v41, 0
	v_mov_b32_e32 v40, 0
	s_and_saveexec_b64 s[20:21], vcc
	s_cbranch_execz .LBB2_99
; %bb.98:                               ;   in Loop: Header=BB2_39 Depth=2
	global_load_ushort v14, v[38:39], off offset:-4
	s_waitcnt vmcnt(0)
	v_and_b32_e32 v40, 0xffff, v14
.LBB2_99:                               ;   in Loop: Header=BB2_39 Depth=2
	s_or_b64 exec, exec, s[20:21]
	v_add_u32_e32 v14, 49, v35
	v_cmp_gt_i32_e32 vcc, s28, v14
	s_and_saveexec_b64 s[20:21], vcc
	s_cbranch_execz .LBB2_101
; %bb.100:                              ;   in Loop: Header=BB2_39 Depth=2
	global_load_ushort v14, v[38:39], off offset:-2
	s_waitcnt vmcnt(0)
	v_perm_b32 v40, v14, v40, s56
.LBB2_101:                              ;   in Loop: Header=BB2_39 Depth=2
	s_or_b64 exec, exec, s[20:21]
	v_add_u32_e32 v14, 50, v35
	v_cmp_gt_i32_e32 vcc, s28, v14
	s_and_saveexec_b64 s[20:21], vcc
	s_cbranch_execz .LBB2_103
; %bb.102:                              ;   in Loop: Header=BB2_39 Depth=2
	global_load_ushort v14, v[38:39], off
	s_waitcnt vmcnt(0)
	v_bfi_b32 v41, s54, v14, v41
.LBB2_103:                              ;   in Loop: Header=BB2_39 Depth=2
	s_or_b64 exec, exec, s[20:21]
.LBB2_104:                              ;   in Loop: Header=BB2_39 Depth=2
	s_andn2_saveexec_b64 s[16:17], s[16:17]
	s_cbranch_execz .LBB2_37
; %bb.105:                              ;   in Loop: Header=BB2_39 Depth=2
	global_load_dwordx2 v[40:41], v[38:39], off offset:-4
	s_branch .LBB2_37
.LBB2_106:                              ;   in Loop: Header=BB2_17 Depth=1
	v_or_b32_e32 v44, s24, v47
	v_pk_mov_b32 v[28:29], 0, 0
	v_cmp_gt_i32_e32 vcc, s31, v44
	s_waitcnt vmcnt(0)
	v_mov_b32_e32 v24, 0
	v_pk_mov_b32 v[42:43], v[28:29], v[28:29] op_sel:[0,1]
	v_mov_b32_e32 v38, 0
	s_and_saveexec_b64 s[4:5], vcc
	s_cbranch_execz .LBB2_108
; %bb.107:                              ;   in Loop: Header=BB2_17 Depth=1
	v_ashrrev_i32_e32 v45, 31, v44
	v_lshlrev_b64 v[22:23], 2, v[44:45]
	v_mov_b32_e32 v25, s41
	v_add_co_u32_e32 v22, vcc, s40, v22
	v_addc_co_u32_e32 v23, vcc, v25, v23, vcc
	global_load_dword v38, v[22:23], off
	v_mad_i64_i32 v[22:23], s[12:13], v44, s42, 0
	v_lshlrev_b64 v[22:23], 2, v[22:23]
	v_mov_b32_e32 v25, s43
	v_add_co_u32_e32 v42, vcc, s30, v22
	v_addc_co_u32_e32 v43, vcc, v25, v23, vcc
.LBB2_108:                              ;   in Loop: Header=BB2_17 Depth=1
	s_or_b64 exec, exec, s[4:5]
	v_or_b32_e32 v22, 16, v44
	v_cmp_gt_i32_e32 vcc, s31, v22
	s_and_saveexec_b64 s[4:5], vcc
	s_cbranch_execz .LBB2_110
; %bb.109:                              ;   in Loop: Header=BB2_17 Depth=1
	v_ashrrev_i32_e32 v45, 31, v44
	v_lshlrev_b64 v[24:25], 2, v[44:45]
	v_mov_b32_e32 v23, s45
	v_add_co_u32_e32 v24, vcc, s44, v24
	v_addc_co_u32_e32 v25, vcc, v23, v25, vcc
	global_load_dword v24, v[24:25], off
	v_mad_i64_i32 v[22:23], s[12:13], v22, s42, 0
	v_lshlrev_b64 v[22:23], 2, v[22:23]
	v_mov_b32_e32 v25, s43
	v_add_co_u32_e32 v28, vcc, s30, v22
	v_addc_co_u32_e32 v29, vcc, v25, v23, vcc
.LBB2_110:                              ;   in Loop: Header=BB2_17 Depth=1
	s_or_b64 exec, exec, s[4:5]
	v_or_b32_e32 v23, 32, v44
	v_pk_mov_b32 v[26:27], 0, 0
	v_cmp_gt_i32_e32 vcc, s31, v23
	v_mov_b32_e32 v22, 0
	v_pk_mov_b32 v[40:41], v[26:27], v[26:27] op_sel:[0,1]
	v_mov_b32_e32 v36, 0
	s_and_saveexec_b64 s[4:5], vcc
	s_cbranch_execz .LBB2_112
; %bb.111:                              ;   in Loop: Header=BB2_17 Depth=1
	v_ashrrev_i32_e32 v45, 31, v44
	v_lshlrev_b64 v[36:37], 2, v[44:45]
	v_mov_b32_e32 v25, s47
	v_add_co_u32_e32 v36, vcc, s46, v36
	v_addc_co_u32_e32 v37, vcc, v25, v37, vcc
	global_load_dword v36, v[36:37], off
	v_mad_i64_i32 v[40:41], s[12:13], v23, s42, 0
	v_lshlrev_b64 v[40:41], 2, v[40:41]
	v_mov_b32_e32 v23, s43
	v_add_co_u32_e32 v40, vcc, s30, v40
	v_addc_co_u32_e32 v41, vcc, v23, v41, vcc
.LBB2_112:                              ;   in Loop: Header=BB2_17 Depth=1
	s_or_b64 exec, exec, s[4:5]
	v_or_b32_e32 v23, 48, v44
	v_cmp_gt_i32_e32 vcc, s31, v23
	s_and_saveexec_b64 s[4:5], vcc
	s_cbranch_execz .LBB2_114
; %bb.113:                              ;   in Loop: Header=BB2_17 Depth=1
	v_ashrrev_i32_e32 v45, 31, v44
	v_lshlrev_b64 v[26:27], 2, v[44:45]
	v_mov_b32_e32 v22, s49
	v_add_co_u32_e32 v26, vcc, s48, v26
	v_addc_co_u32_e32 v27, vcc, v22, v27, vcc
	global_load_dword v22, v[26:27], off
	v_mad_i64_i32 v[26:27], s[12:13], v23, s42, 0
	v_lshlrev_b64 v[26:27], 2, v[26:27]
	v_mov_b32_e32 v23, s43
	v_add_co_u32_e32 v26, vcc, s30, v26
	v_addc_co_u32_e32 v27, vcc, v23, v27, vcc
.LBB2_114:                              ;   in Loop: Header=BB2_17 Depth=1
	s_or_b64 exec, exec, s[4:5]
	v_cmp_ne_u64_e32 vcc, 0, v[42:43]
	s_and_saveexec_b64 s[4:5], s[18:19]
	s_xor_b64 s[24:25], exec, s[4:5]
	s_cbranch_execz .LBB2_134
; %bb.115:                              ;   in Loop: Header=BB2_17 Depth=1
	v_cmp_ne_u64_e64 s[16:17], 0, v[28:29]
	v_cmp_ne_u64_e64 s[12:13], 0, v[40:41]
	;; [unrolled: 1-line block ×3, first 2 shown]
	s_and_saveexec_b64 s[26:27], s[0:1]
	s_cbranch_execz .LBB2_121
; %bb.116:                              ;   in Loop: Header=BB2_17 Depth=1
	s_and_saveexec_b64 s[36:37], vcc
	s_cbranch_execnz .LBB2_143
; %bb.117:                              ;   in Loop: Header=BB2_17 Depth=1
	s_or_b64 exec, exec, s[36:37]
	s_and_saveexec_b64 s[36:37], s[16:17]
	s_cbranch_execnz .LBB2_144
.LBB2_118:                              ;   in Loop: Header=BB2_17 Depth=1
	s_or_b64 exec, exec, s[36:37]
	s_and_saveexec_b64 s[36:37], s[12:13]
	s_cbranch_execnz .LBB2_145
.LBB2_119:                              ;   in Loop: Header=BB2_17 Depth=1
	s_or_b64 exec, exec, s[36:37]
	s_and_b64 exec, exec, s[4:5]
	s_cbranch_execz .LBB2_121
.LBB2_120:                              ;   in Loop: Header=BB2_17 Depth=1
	v_lshlrev_b64 v[44:45], 2, v[30:31]
	v_add_co_u32_e64 v44, s[20:21], v26, v44
	v_addc_co_u32_e64 v45, s[20:21], v27, v45, s[20:21]
	s_waitcnt vmcnt(0)
	v_mul_f32_e32 v6, v22, v6
	flat_store_dword v[44:45], v6
.LBB2_121:                              ;   in Loop: Header=BB2_17 Depth=1
	s_or_b64 exec, exec, s[26:27]
	s_and_saveexec_b64 s[26:27], s[2:3]
	s_cbranch_execz .LBB2_127
; %bb.122:                              ;   in Loop: Header=BB2_17 Depth=1
	s_and_saveexec_b64 s[36:37], vcc
	s_cbranch_execnz .LBB2_146
; %bb.123:                              ;   in Loop: Header=BB2_17 Depth=1
	s_or_b64 exec, exec, s[36:37]
	s_and_saveexec_b64 s[36:37], s[16:17]
	s_cbranch_execnz .LBB2_147
.LBB2_124:                              ;   in Loop: Header=BB2_17 Depth=1
	s_or_b64 exec, exec, s[36:37]
	s_and_saveexec_b64 s[36:37], s[12:13]
	s_cbranch_execnz .LBB2_148
.LBB2_125:                              ;   in Loop: Header=BB2_17 Depth=1
	s_or_b64 exec, exec, s[36:37]
	s_and_b64 exec, exec, s[4:5]
	s_cbranch_execz .LBB2_127
.LBB2_126:                              ;   in Loop: Header=BB2_17 Depth=1
	v_lshlrev_b64 v[10:11], 2, v[30:31]
	v_add_co_u32_e64 v10, s[20:21], v26, v10
	v_addc_co_u32_e64 v11, s[20:21], v27, v11, s[20:21]
	s_waitcnt vmcnt(0)
	v_mul_f32_e32 v6, v22, v7
	flat_store_dword v[10:11], v6 offset:4
.LBB2_127:                              ;   in Loop: Header=BB2_17 Depth=1
	s_or_b64 exec, exec, s[26:27]
	s_and_saveexec_b64 s[26:27], s[14:15]
	s_cbranch_execz .LBB2_133
; %bb.128:                              ;   in Loop: Header=BB2_17 Depth=1
	s_and_saveexec_b64 s[36:37], vcc
	s_cbranch_execnz .LBB2_149
; %bb.129:                              ;   in Loop: Header=BB2_17 Depth=1
	s_or_b64 exec, exec, s[36:37]
	s_and_saveexec_b64 s[20:21], s[16:17]
	s_cbranch_execnz .LBB2_150
.LBB2_130:                              ;   in Loop: Header=BB2_17 Depth=1
	s_or_b64 exec, exec, s[20:21]
	s_and_saveexec_b64 s[16:17], s[12:13]
	s_cbranch_execnz .LBB2_151
.LBB2_131:                              ;   in Loop: Header=BB2_17 Depth=1
	s_or_b64 exec, exec, s[16:17]
	s_and_b64 exec, exec, s[4:5]
	s_cbranch_execz .LBB2_133
.LBB2_132:                              ;   in Loop: Header=BB2_17 Depth=1
	v_lshlrev_b64 v[6:7], 2, v[30:31]
	v_add_co_u32_e64 v6, s[4:5], v26, v6
	v_addc_co_u32_e64 v7, s[4:5], v27, v7, s[4:5]
	s_waitcnt vmcnt(0)
	v_mul_f32_e32 v8, v22, v8
	flat_store_dword v[6:7], v8 offset:8
.LBB2_133:                              ;   in Loop: Header=BB2_17 Depth=1
	s_or_b64 exec, exec, s[26:27]
                                        ; implicit-def: $vgpr18_vgpr19_vgpr20_vgpr21
                                        ; implicit-def: $vgpr14_vgpr15_vgpr16_vgpr17
                                        ; implicit-def: $vgpr10_vgpr11_vgpr12_vgpr13
                                        ; implicit-def: $vgpr6_vgpr7_vgpr8_vgpr9
                                        ; implicit-def: $vgpr42_vgpr43
                                        ; implicit-def: $vgpr38
                                        ; implicit-def: $vgpr28_vgpr29
                                        ; implicit-def: $vgpr24
                                        ; implicit-def: $vgpr40_vgpr41
                                        ; implicit-def: $vgpr36
                                        ; implicit-def: $vgpr26_vgpr27
                                        ; implicit-def: $vgpr22
.LBB2_134:                              ;   in Loop: Header=BB2_17 Depth=1
	s_andn2_saveexec_b64 s[4:5], s[24:25]
	s_cbranch_execz .LBB2_16
; %bb.135:                              ;   in Loop: Header=BB2_17 Depth=1
	s_and_saveexec_b64 s[12:13], vcc
	s_cbranch_execnz .LBB2_139
; %bb.136:                              ;   in Loop: Header=BB2_17 Depth=1
	s_or_b64 exec, exec, s[12:13]
	v_cmp_ne_u64_e32 vcc, 0, v[28:29]
	s_and_saveexec_b64 s[12:13], vcc
	s_cbranch_execnz .LBB2_140
.LBB2_137:                              ;   in Loop: Header=BB2_17 Depth=1
	s_or_b64 exec, exec, s[12:13]
	v_cmp_ne_u64_e32 vcc, 0, v[40:41]
	s_and_saveexec_b64 s[12:13], vcc
	s_cbranch_execnz .LBB2_141
.LBB2_138:                              ;   in Loop: Header=BB2_17 Depth=1
	s_or_b64 exec, exec, s[12:13]
	v_cmp_ne_u64_e32 vcc, 0, v[26:27]
	s_and_saveexec_b64 s[12:13], vcc
	s_cbranch_execz .LBB2_15
	s_branch .LBB2_142
.LBB2_139:                              ;   in Loop: Header=BB2_17 Depth=1
	v_lshlrev_b64 v[44:45], 2, v[30:31]
	v_add_co_u32_e32 v42, vcc, v42, v44
	v_addc_co_u32_e32 v43, vcc, v43, v45, vcc
	s_waitcnt vmcnt(0)
	v_pk_mul_f32 v[20:21], v[20:21], v[38:39] op_sel_hi:[1,0]
	v_pk_mul_f32 v[18:19], v[18:19], v[38:39] op_sel_hi:[1,0]
	flat_store_dwordx4 v[42:43], v[18:21]
	s_or_b64 exec, exec, s[12:13]
	v_cmp_ne_u64_e32 vcc, 0, v[28:29]
	s_and_saveexec_b64 s[12:13], vcc
	s_cbranch_execz .LBB2_137
.LBB2_140:                              ;   in Loop: Header=BB2_17 Depth=1
	v_lshlrev_b64 v[18:19], 2, v[30:31]
	v_add_co_u32_e32 v18, vcc, v28, v18
	v_addc_co_u32_e32 v19, vcc, v29, v19, vcc
	s_waitcnt vmcnt(0)
	v_pk_mul_f32 v[16:17], v[16:17], v[24:25] op_sel_hi:[1,0]
	v_pk_mul_f32 v[14:15], v[14:15], v[24:25] op_sel_hi:[1,0]
	flat_store_dwordx4 v[18:19], v[14:17]
	s_or_b64 exec, exec, s[12:13]
	v_cmp_ne_u64_e32 vcc, 0, v[40:41]
	s_and_saveexec_b64 s[12:13], vcc
	s_cbranch_execz .LBB2_138
.LBB2_141:                              ;   in Loop: Header=BB2_17 Depth=1
	v_lshlrev_b64 v[14:15], 2, v[30:31]
	v_add_co_u32_e32 v14, vcc, v40, v14
	v_addc_co_u32_e32 v15, vcc, v41, v15, vcc
	s_waitcnt vmcnt(0)
	v_pk_mul_f32 v[12:13], v[12:13], v[36:37] op_sel_hi:[1,0]
	v_pk_mul_f32 v[10:11], v[10:11], v[36:37] op_sel_hi:[1,0]
	flat_store_dwordx4 v[14:15], v[10:13]
	s_or_b64 exec, exec, s[12:13]
	v_cmp_ne_u64_e32 vcc, 0, v[26:27]
	s_and_saveexec_b64 s[12:13], vcc
	s_cbranch_execz .LBB2_15
.LBB2_142:                              ;   in Loop: Header=BB2_17 Depth=1
	v_lshlrev_b64 v[10:11], 2, v[30:31]
	v_add_co_u32_e32 v10, vcc, v26, v10
	v_addc_co_u32_e32 v11, vcc, v27, v11, vcc
	s_waitcnt vmcnt(0)
	v_pk_mul_f32 v[8:9], v[8:9], v[22:23] op_sel_hi:[1,0]
	v_pk_mul_f32 v[6:7], v[6:7], v[22:23] op_sel_hi:[1,0]
	flat_store_dwordx4 v[10:11], v[6:9]
	s_branch .LBB2_15
.LBB2_143:                              ;   in Loop: Header=BB2_17 Depth=1
	v_lshlrev_b64 v[44:45], 2, v[30:31]
	v_add_co_u32_e64 v44, s[20:21], v42, v44
	v_addc_co_u32_e64 v45, s[20:21], v43, v45, s[20:21]
	s_waitcnt vmcnt(0)
	v_mul_f32_e32 v9, v38, v18
	flat_store_dword v[44:45], v9
	s_or_b64 exec, exec, s[36:37]
	s_and_saveexec_b64 s[36:37], s[16:17]
	s_cbranch_execz .LBB2_118
.LBB2_144:                              ;   in Loop: Header=BB2_17 Depth=1
	v_lshlrev_b64 v[44:45], 2, v[30:31]
	v_add_co_u32_e64 v44, s[20:21], v28, v44
	v_addc_co_u32_e64 v45, s[20:21], v29, v45, s[20:21]
	s_waitcnt vmcnt(0)
	v_mul_f32_e32 v9, v24, v14
	flat_store_dword v[44:45], v9
	s_or_b64 exec, exec, s[36:37]
	s_and_saveexec_b64 s[36:37], s[12:13]
	s_cbranch_execz .LBB2_119
.LBB2_145:                              ;   in Loop: Header=BB2_17 Depth=1
	v_lshlrev_b64 v[44:45], 2, v[30:31]
	v_add_co_u32_e64 v44, s[20:21], v40, v44
	v_addc_co_u32_e64 v45, s[20:21], v41, v45, s[20:21]
	s_waitcnt vmcnt(0)
	v_mul_f32_e32 v9, v36, v10
	flat_store_dword v[44:45], v9
	s_or_b64 exec, exec, s[36:37]
	s_and_b64 exec, exec, s[4:5]
	s_cbranch_execnz .LBB2_120
	s_branch .LBB2_121
.LBB2_146:                              ;   in Loop: Header=BB2_17 Depth=1
	v_lshlrev_b64 v[44:45], 2, v[30:31]
	v_add_co_u32_e64 v44, s[20:21], v42, v44
	v_addc_co_u32_e64 v45, s[20:21], v43, v45, s[20:21]
	s_waitcnt vmcnt(0)
	v_mul_f32_e32 v6, v38, v19
	flat_store_dword v[44:45], v6 offset:4
	s_or_b64 exec, exec, s[36:37]
	s_and_saveexec_b64 s[36:37], s[16:17]
	s_cbranch_execz .LBB2_124
.LBB2_147:                              ;   in Loop: Header=BB2_17 Depth=1
	v_lshlrev_b64 v[18:19], 2, v[30:31]
	v_add_co_u32_e64 v18, s[20:21], v28, v18
	v_addc_co_u32_e64 v19, s[20:21], v29, v19, s[20:21]
	s_waitcnt vmcnt(0)
	v_mul_f32_e32 v6, v24, v15
	flat_store_dword v[18:19], v6 offset:4
	s_or_b64 exec, exec, s[36:37]
	s_and_saveexec_b64 s[36:37], s[12:13]
	s_cbranch_execz .LBB2_125
.LBB2_148:                              ;   in Loop: Header=BB2_17 Depth=1
	v_lshlrev_b64 v[14:15], 2, v[30:31]
	v_add_co_u32_e64 v14, s[20:21], v40, v14
	v_addc_co_u32_e64 v15, s[20:21], v41, v15, s[20:21]
	s_waitcnt vmcnt(0)
	v_mul_f32_e32 v6, v36, v11
	flat_store_dword v[14:15], v6 offset:4
	s_or_b64 exec, exec, s[36:37]
	s_and_b64 exec, exec, s[4:5]
	s_cbranch_execnz .LBB2_126
	s_branch .LBB2_127
.LBB2_149:                              ;   in Loop: Header=BB2_17 Depth=1
	v_lshlrev_b64 v[6:7], 2, v[30:31]
	v_add_co_u32_e64 v6, s[20:21], v42, v6
	v_addc_co_u32_e64 v7, s[20:21], v43, v7, s[20:21]
	s_waitcnt vmcnt(0)
	v_mul_f32_e32 v9, v38, v20
	flat_store_dword v[6:7], v9 offset:8
	s_or_b64 exec, exec, s[36:37]
	s_and_saveexec_b64 s[20:21], s[16:17]
	s_cbranch_execz .LBB2_130
.LBB2_150:                              ;   in Loop: Header=BB2_17 Depth=1
	v_lshlrev_b64 v[6:7], 2, v[30:31]
	v_add_co_u32_e64 v6, s[16:17], v28, v6
	v_addc_co_u32_e64 v7, s[16:17], v29, v7, s[16:17]
	s_waitcnt vmcnt(0)
	v_mul_f32_e32 v9, v24, v16
	flat_store_dword v[6:7], v9 offset:8
	s_or_b64 exec, exec, s[20:21]
	s_and_saveexec_b64 s[16:17], s[12:13]
	s_cbranch_execz .LBB2_131
.LBB2_151:                              ;   in Loop: Header=BB2_17 Depth=1
	v_lshlrev_b64 v[6:7], 2, v[30:31]
	v_add_co_u32_e64 v6, s[12:13], v40, v6
	v_addc_co_u32_e64 v7, s[12:13], v41, v7, s[12:13]
	s_waitcnt vmcnt(0)
	v_mul_f32_e32 v9, v36, v12
	flat_store_dword v[6:7], v9 offset:8
	s_or_b64 exec, exec, s[16:17]
	s_and_b64 exec, exec, s[4:5]
	s_cbranch_execnz .LBB2_132
	s_branch .LBB2_133
.LBB2_152:
	s_endpgm
	.section	.rodata,"a",@progbits
	.p2align	6, 0x0
	.amdhsa_kernel _Z26moe_mlp2_store_mfma_kernelPKiiiPKfS2_PfPK14__hip_bfloat16S6_iixx
		.amdhsa_group_segment_fixed_size 17408
		.amdhsa_private_segment_fixed_size 0
		.amdhsa_kernarg_size 336
		.amdhsa_user_sgpr_count 6
		.amdhsa_user_sgpr_private_segment_buffer 1
		.amdhsa_user_sgpr_dispatch_ptr 0
		.amdhsa_user_sgpr_queue_ptr 0
		.amdhsa_user_sgpr_kernarg_segment_ptr 1
		.amdhsa_user_sgpr_dispatch_id 0
		.amdhsa_user_sgpr_flat_scratch_init 0
		.amdhsa_user_sgpr_kernarg_preload_length 0
		.amdhsa_user_sgpr_kernarg_preload_offset 0
		.amdhsa_user_sgpr_private_segment_size 0
		.amdhsa_uses_dynamic_stack 0
		.amdhsa_system_sgpr_private_segment_wavefront_offset 0
		.amdhsa_system_sgpr_workgroup_id_x 1
		.amdhsa_system_sgpr_workgroup_id_y 1
		.amdhsa_system_sgpr_workgroup_id_z 1
		.amdhsa_system_sgpr_workgroup_info 0
		.amdhsa_system_vgpr_workitem_id 0
		.amdhsa_next_free_vgpr 62
		.amdhsa_next_free_sgpr 57
		.amdhsa_accum_offset 64
		.amdhsa_reserve_vcc 1
		.amdhsa_reserve_flat_scratch 0
		.amdhsa_float_round_mode_32 0
		.amdhsa_float_round_mode_16_64 0
		.amdhsa_float_denorm_mode_32 3
		.amdhsa_float_denorm_mode_16_64 3
		.amdhsa_dx10_clamp 1
		.amdhsa_ieee_mode 1
		.amdhsa_fp16_overflow 0
		.amdhsa_tg_split 0
		.amdhsa_exception_fp_ieee_invalid_op 0
		.amdhsa_exception_fp_denorm_src 0
		.amdhsa_exception_fp_ieee_div_zero 0
		.amdhsa_exception_fp_ieee_overflow 0
		.amdhsa_exception_fp_ieee_underflow 0
		.amdhsa_exception_fp_ieee_inexact 0
		.amdhsa_exception_int_div_zero 0
	.end_amdhsa_kernel
	.text
.Lfunc_end2:
	.size	_Z26moe_mlp2_store_mfma_kernelPKiiiPKfS2_PfPK14__hip_bfloat16S6_iixx, .Lfunc_end2-_Z26moe_mlp2_store_mfma_kernelPKiiiPKfS2_PfPK14__hip_bfloat16S6_iixx
                                        ; -- End function
	.section	.AMDGPU.csdata,"",@progbits
; Kernel info:
; codeLenInByte = 4688
; NumSgprs: 61
; NumVgprs: 62
; NumAgprs: 0
; TotalNumVgprs: 62
; ScratchSize: 0
; MemoryBound: 0
; FloatMode: 240
; IeeeMode: 1
; LDSByteSize: 17408 bytes/workgroup (compile time only)
; SGPRBlocks: 7
; VGPRBlocks: 7
; NumSGPRsForWavesPerEU: 61
; NumVGPRsForWavesPerEU: 62
; AccumOffset: 64
; Occupancy: 8
; WaveLimiterHint : 1
; COMPUTE_PGM_RSRC2:SCRATCH_EN: 0
; COMPUTE_PGM_RSRC2:USER_SGPR: 6
; COMPUTE_PGM_RSRC2:TRAP_HANDLER: 0
; COMPUTE_PGM_RSRC2:TGID_X_EN: 1
; COMPUTE_PGM_RSRC2:TGID_Y_EN: 1
; COMPUTE_PGM_RSRC2:TGID_Z_EN: 1
; COMPUTE_PGM_RSRC2:TIDIG_COMP_CNT: 0
; COMPUTE_PGM_RSRC3_GFX90A:ACCUM_OFFSET: 15
; COMPUTE_PGM_RSRC3_GFX90A:TG_SPLIT: 0
	.text
	.protected	_Z36accumulate_remote_assignments_kernelPKfPKiiiiPf ; -- Begin function _Z36accumulate_remote_assignments_kernelPKfPKiiiiPf
	.globl	_Z36accumulate_remote_assignments_kernelPKfPKiiiiPf
	.p2align	8
	.type	_Z36accumulate_remote_assignments_kernelPKfPKiiiiPf,@function
_Z36accumulate_remote_assignments_kernelPKfPKiiiiPf: ; @_Z36accumulate_remote_assignments_kernelPKfPKiiiiPf
; %bb.0:
	s_load_dword s8, s[4:5], 0x34
	s_load_dwordx4 s[0:3], s[4:5], 0x10
	s_waitcnt lgkmcnt(0)
	s_and_b32 s3, s8, 0xffff
	s_mul_i32 s6, s6, s3
	v_add_u32_e32 v0, s6, v0
	s_cmp_lt_i32 s7, s1
	v_cmp_gt_i32_e32 vcc, s2, v0
	s_cselect_b64 s[8:9], -1, 0
	s_and_b64 s[8:9], s[8:9], vcc
	s_and_saveexec_b64 s[10:11], s[8:9]
	s_cbranch_execz .LBB3_3
; %bb.1:
	s_load_dwordx4 s[8:11], s[4:5], 0x0
	s_load_dwordx2 s[12:13], s[4:5], 0x20
	s_add_i32 s0, s7, s0
	s_ashr_i32 s1, s0, 31
	s_lshl_b64 s[0:1], s[0:1], 2
	s_waitcnt lgkmcnt(0)
	s_add_u32 s0, s10, s0
	s_addc_u32 s1, s11, s1
	s_load_dword s0, s[0:1], 0x0
	v_ashrrev_i32_e32 v1, 31, v0
	v_lshlrev_b64 v[2:3], 2, v[0:1]
	s_waitcnt lgkmcnt(0)
	s_mul_hi_i32 s1, s0, s2
	s_mul_i32 s0, s0, s2
	s_lshl_b64 s[0:1], s[0:1], 2
	s_add_u32 s0, s12, s0
	s_addc_u32 s1, s13, s1
	v_mov_b32_e32 v1, s1
	v_add_co_u32_e32 v0, vcc, s0, v2
	s_mul_hi_i32 s1, s2, s7
	s_mul_i32 s0, s2, s7
	s_lshl_b64 s[0:1], s[0:1], 2
	s_add_u32 s0, s8, s0
	v_addc_co_u32_e32 v1, vcc, v1, v3, vcc
	s_addc_u32 s1, s9, s1
	v_mov_b32_e32 v4, s1
	v_add_co_u32_e32 v6, vcc, s0, v2
	v_addc_co_u32_e32 v7, vcc, v4, v3, vcc
	global_load_dword v4, v[6:7], off
	global_load_dword v3, v[0:1], off
	s_mov_b64 s[0:1], 0
.LBB3_2:                                ; =>This Inner Loop Header: Depth=1
	s_waitcnt vmcnt(0)
	v_add_f32_e32 v2, v3, v4
	global_atomic_cmpswap v2, v[0:1], v[2:3], off glc
	s_waitcnt vmcnt(0)
	v_cmp_eq_u32_e32 vcc, v2, v3
	s_or_b64 s[0:1], vcc, s[0:1]
	v_mov_b32_e32 v3, v2
	s_andn2_b64 exec, exec, s[0:1]
	s_cbranch_execnz .LBB3_2
.LBB3_3:
	s_endpgm
	.section	.rodata,"a",@progbits
	.p2align	6, 0x0
	.amdhsa_kernel _Z36accumulate_remote_assignments_kernelPKfPKiiiiPf
		.amdhsa_group_segment_fixed_size 0
		.amdhsa_private_segment_fixed_size 0
		.amdhsa_kernarg_size 296
		.amdhsa_user_sgpr_count 6
		.amdhsa_user_sgpr_private_segment_buffer 1
		.amdhsa_user_sgpr_dispatch_ptr 0
		.amdhsa_user_sgpr_queue_ptr 0
		.amdhsa_user_sgpr_kernarg_segment_ptr 1
		.amdhsa_user_sgpr_dispatch_id 0
		.amdhsa_user_sgpr_flat_scratch_init 0
		.amdhsa_user_sgpr_kernarg_preload_length 0
		.amdhsa_user_sgpr_kernarg_preload_offset 0
		.amdhsa_user_sgpr_private_segment_size 0
		.amdhsa_uses_dynamic_stack 0
		.amdhsa_system_sgpr_private_segment_wavefront_offset 0
		.amdhsa_system_sgpr_workgroup_id_x 1
		.amdhsa_system_sgpr_workgroup_id_y 1
		.amdhsa_system_sgpr_workgroup_id_z 0
		.amdhsa_system_sgpr_workgroup_info 0
		.amdhsa_system_vgpr_workitem_id 0
		.amdhsa_next_free_vgpr 8
		.amdhsa_next_free_sgpr 14
		.amdhsa_accum_offset 8
		.amdhsa_reserve_vcc 1
		.amdhsa_reserve_flat_scratch 0
		.amdhsa_float_round_mode_32 0
		.amdhsa_float_round_mode_16_64 0
		.amdhsa_float_denorm_mode_32 3
		.amdhsa_float_denorm_mode_16_64 3
		.amdhsa_dx10_clamp 1
		.amdhsa_ieee_mode 1
		.amdhsa_fp16_overflow 0
		.amdhsa_tg_split 0
		.amdhsa_exception_fp_ieee_invalid_op 0
		.amdhsa_exception_fp_denorm_src 0
		.amdhsa_exception_fp_ieee_div_zero 0
		.amdhsa_exception_fp_ieee_overflow 0
		.amdhsa_exception_fp_ieee_underflow 0
		.amdhsa_exception_fp_ieee_inexact 0
		.amdhsa_exception_int_div_zero 0
	.end_amdhsa_kernel
	.text
.Lfunc_end3:
	.size	_Z36accumulate_remote_assignments_kernelPKfPKiiiiPf, .Lfunc_end3-_Z36accumulate_remote_assignments_kernelPKfPKiiiiPf
                                        ; -- End function
	.section	.AMDGPU.csdata,"",@progbits
; Kernel info:
; codeLenInByte = 252
; NumSgprs: 18
; NumVgprs: 8
; NumAgprs: 0
; TotalNumVgprs: 8
; ScratchSize: 0
; MemoryBound: 0
; FloatMode: 240
; IeeeMode: 1
; LDSByteSize: 0 bytes/workgroup (compile time only)
; SGPRBlocks: 2
; VGPRBlocks: 0
; NumSGPRsForWavesPerEU: 18
; NumVGPRsForWavesPerEU: 8
; AccumOffset: 8
; Occupancy: 8
; WaveLimiterHint : 1
; COMPUTE_PGM_RSRC2:SCRATCH_EN: 0
; COMPUTE_PGM_RSRC2:USER_SGPR: 6
; COMPUTE_PGM_RSRC2:TRAP_HANDLER: 0
; COMPUTE_PGM_RSRC2:TGID_X_EN: 1
; COMPUTE_PGM_RSRC2:TGID_Y_EN: 1
; COMPUTE_PGM_RSRC2:TGID_Z_EN: 0
; COMPUTE_PGM_RSRC2:TIDIG_COMP_CNT: 0
; COMPUTE_PGM_RSRC3_GFX90A:ACCUM_OFFSET: 1
; COMPUTE_PGM_RSRC3_GFX90A:TG_SPLIT: 0
	.text
	.p2alignl 6, 3212836864
	.fill 256, 4, 3212836864
	.type	__hip_cuid_e6c6f5b34f9cc781,@object ; @__hip_cuid_e6c6f5b34f9cc781
	.section	.bss,"aw",@nobits
	.globl	__hip_cuid_e6c6f5b34f9cc781
__hip_cuid_e6c6f5b34f9cc781:
	.byte	0                               ; 0x0
	.size	__hip_cuid_e6c6f5b34f9cc781, 1

	.ident	"AMD clang version 19.0.0git (https://github.com/RadeonOpenCompute/llvm-project roc-6.4.0 25133 c7fe45cf4b819c5991fe208aaa96edf142730f1d)"
	.section	".note.GNU-stack","",@progbits
	.addrsig
	.addrsig_sym __hip_cuid_e6c6f5b34f9cc781
	.amdgpu_metadata
---
amdhsa.kernels:
  - .agpr_count:     0
    .args:
      - .actual_access:  read_only
        .address_space:  global
        .offset:         0
        .size:           8
        .value_kind:     global_buffer
      - .offset:         8
        .size:           4
        .value_kind:     by_value
      - .offset:         12
        .size:           4
        .value_kind:     by_value
      - .actual_access:  read_only
        .address_space:  global
        .offset:         16
        .size:           8
        .value_kind:     global_buffer
      - .actual_access:  write_only
        .address_space:  global
        .offset:         24
        .size:           8
        .value_kind:     global_buffer
      - .actual_access:  read_only
        .address_space:  global
        .offset:         32
        .size:           8
        .value_kind:     global_buffer
      - .actual_access:  read_only
        .address_space:  global
        .offset:         40
        .size:           8
        .value_kind:     global_buffer
      - .offset:         48
        .size:           4
        .value_kind:     by_value
      - .offset:         52
        .size:           4
        .value_kind:     by_value
      - .offset:         56
        .size:           8
        .value_kind:     by_value
      - .offset:         64
        .size:           8
        .value_kind:     by_value
      - .offset:         72
        .size:           4
        .value_kind:     by_value
      - .offset:         76
        .size:           4
        .value_kind:     by_value
      - .offset:         80
        .size:           4
        .value_kind:     hidden_block_count_x
      - .offset:         84
        .size:           4
        .value_kind:     hidden_block_count_y
      - .offset:         88
        .size:           4
        .value_kind:     hidden_block_count_z
      - .offset:         92
        .size:           2
        .value_kind:     hidden_group_size_x
      - .offset:         94
        .size:           2
        .value_kind:     hidden_group_size_y
      - .offset:         96
        .size:           2
        .value_kind:     hidden_group_size_z
      - .offset:         98
        .size:           2
        .value_kind:     hidden_remainder_x
      - .offset:         100
        .size:           2
        .value_kind:     hidden_remainder_y
      - .offset:         102
        .size:           2
        .value_kind:     hidden_remainder_z
      - .offset:         120
        .size:           8
        .value_kind:     hidden_global_offset_x
      - .offset:         128
        .size:           8
        .value_kind:     hidden_global_offset_y
      - .offset:         136
        .size:           8
        .value_kind:     hidden_global_offset_z
      - .offset:         144
        .size:           2
        .value_kind:     hidden_grid_dims
    .group_segment_fixed_size: 17408
    .kernarg_segment_align: 8
    .kernarg_segment_size: 336
    .language:       OpenCL C
    .language_version:
      - 2
      - 0
    .max_flat_workgroup_size: 1024
    .name:           _Z27moe_mlp1_swiglu_mfma_kernelPKiiiPKfPfPK14__hip_bfloat16S6_iixxff
    .private_segment_fixed_size: 0
    .sgpr_count:     60
    .sgpr_spill_count: 0
    .symbol:         _Z27moe_mlp1_swiglu_mfma_kernelPKiiiPKfPfPK14__hip_bfloat16S6_iixxff.kd
    .uniform_work_group_size: 1
    .uses_dynamic_stack: false
    .vgpr_count:     70
    .vgpr_spill_count: 0
    .wavefront_size: 64
  - .agpr_count:     0
    .args:
      - .actual_access:  read_only
        .address_space:  global
        .offset:         0
        .size:           8
        .value_kind:     global_buffer
      - .offset:         8
        .size:           4
        .value_kind:     by_value
      - .offset:         12
        .size:           4
        .value_kind:     by_value
      - .actual_access:  read_only
        .address_space:  global
        .offset:         16
        .size:           8
        .value_kind:     global_buffer
      - .actual_access:  read_only
        .address_space:  global
        .offset:         24
        .size:           8
        .value_kind:     global_buffer
      - .actual_access:  read_only
        .address_space:  global
        .offset:         32
        .size:           8
        .value_kind:     global_buffer
      - .address_space:  global
        .offset:         40
        .size:           8
        .value_kind:     global_buffer
      - .actual_access:  read_only
        .address_space:  global
        .offset:         48
        .size:           8
        .value_kind:     global_buffer
      - .actual_access:  read_only
        .address_space:  global
        .offset:         56
        .size:           8
        .value_kind:     global_buffer
      - .offset:         64
        .size:           4
        .value_kind:     by_value
      - .offset:         68
        .size:           4
        .value_kind:     by_value
      - .offset:         72
        .size:           8
        .value_kind:     by_value
      - .offset:         80
        .size:           8
        .value_kind:     by_value
      - .offset:         88
        .size:           4
        .value_kind:     hidden_block_count_x
      - .offset:         92
        .size:           4
        .value_kind:     hidden_block_count_y
      - .offset:         96
        .size:           4
        .value_kind:     hidden_block_count_z
      - .offset:         100
        .size:           2
        .value_kind:     hidden_group_size_x
      - .offset:         102
        .size:           2
        .value_kind:     hidden_group_size_y
      - .offset:         104
        .size:           2
        .value_kind:     hidden_group_size_z
      - .offset:         106
        .size:           2
        .value_kind:     hidden_remainder_x
      - .offset:         108
        .size:           2
        .value_kind:     hidden_remainder_y
      - .offset:         110
        .size:           2
        .value_kind:     hidden_remainder_z
      - .offset:         128
        .size:           8
        .value_kind:     hidden_global_offset_x
      - .offset:         136
        .size:           8
        .value_kind:     hidden_global_offset_y
      - .offset:         144
        .size:           8
        .value_kind:     hidden_global_offset_z
      - .offset:         152
        .size:           2
        .value_kind:     hidden_grid_dims
    .group_segment_fixed_size: 17408
    .kernarg_segment_align: 8
    .kernarg_segment_size: 344
    .language:       OpenCL C
    .language_version:
      - 2
      - 0
    .max_flat_workgroup_size: 1024
    .name:           _Z28moe_mlp2_scatter_mfma_kernelPKiiiPKfS0_S2_PfPK14__hip_bfloat16S6_iixx
    .private_segment_fixed_size: 0
    .sgpr_count:     71
    .sgpr_spill_count: 0
    .symbol:         _Z28moe_mlp2_scatter_mfma_kernelPKiiiPKfS0_S2_PfPK14__hip_bfloat16S6_iixx.kd
    .uniform_work_group_size: 1
    .uses_dynamic_stack: false
    .vgpr_count:     62
    .vgpr_spill_count: 0
    .wavefront_size: 64
  - .agpr_count:     0
    .args:
      - .actual_access:  read_only
        .address_space:  global
        .offset:         0
        .size:           8
        .value_kind:     global_buffer
      - .offset:         8
        .size:           4
        .value_kind:     by_value
      - .offset:         12
        .size:           4
        .value_kind:     by_value
      - .actual_access:  read_only
        .address_space:  global
        .offset:         16
        .size:           8
        .value_kind:     global_buffer
      - .actual_access:  read_only
        .address_space:  global
        .offset:         24
        .size:           8
        .value_kind:     global_buffer
      - .actual_access:  write_only
        .address_space:  global
        .offset:         32
        .size:           8
        .value_kind:     global_buffer
      - .actual_access:  read_only
        .address_space:  global
        .offset:         40
        .size:           8
        .value_kind:     global_buffer
      - .actual_access:  read_only
        .address_space:  global
        .offset:         48
        .size:           8
        .value_kind:     global_buffer
      - .offset:         56
        .size:           4
        .value_kind:     by_value
      - .offset:         60
        .size:           4
        .value_kind:     by_value
      - .offset:         64
        .size:           8
        .value_kind:     by_value
      - .offset:         72
        .size:           8
        .value_kind:     by_value
      - .offset:         80
        .size:           4
        .value_kind:     hidden_block_count_x
      - .offset:         84
        .size:           4
        .value_kind:     hidden_block_count_y
      - .offset:         88
        .size:           4
        .value_kind:     hidden_block_count_z
      - .offset:         92
        .size:           2
        .value_kind:     hidden_group_size_x
      - .offset:         94
        .size:           2
        .value_kind:     hidden_group_size_y
      - .offset:         96
        .size:           2
        .value_kind:     hidden_group_size_z
      - .offset:         98
        .size:           2
        .value_kind:     hidden_remainder_x
      - .offset:         100
        .size:           2
        .value_kind:     hidden_remainder_y
      - .offset:         102
        .size:           2
        .value_kind:     hidden_remainder_z
      - .offset:         120
        .size:           8
        .value_kind:     hidden_global_offset_x
      - .offset:         128
        .size:           8
        .value_kind:     hidden_global_offset_y
      - .offset:         136
        .size:           8
        .value_kind:     hidden_global_offset_z
      - .offset:         144
        .size:           2
        .value_kind:     hidden_grid_dims
    .group_segment_fixed_size: 17408
    .kernarg_segment_align: 8
    .kernarg_segment_size: 336
    .language:       OpenCL C
    .language_version:
      - 2
      - 0
    .max_flat_workgroup_size: 1024
    .name:           _Z26moe_mlp2_store_mfma_kernelPKiiiPKfS2_PfPK14__hip_bfloat16S6_iixx
    .private_segment_fixed_size: 0
    .sgpr_count:     61
    .sgpr_spill_count: 0
    .symbol:         _Z26moe_mlp2_store_mfma_kernelPKiiiPKfS2_PfPK14__hip_bfloat16S6_iixx.kd
    .uniform_work_group_size: 1
    .uses_dynamic_stack: false
    .vgpr_count:     62
    .vgpr_spill_count: 0
    .wavefront_size: 64
  - .agpr_count:     0
    .args:
      - .actual_access:  read_only
        .address_space:  global
        .offset:         0
        .size:           8
        .value_kind:     global_buffer
      - .actual_access:  read_only
        .address_space:  global
        .offset:         8
        .size:           8
        .value_kind:     global_buffer
      - .offset:         16
        .size:           4
        .value_kind:     by_value
      - .offset:         20
        .size:           4
        .value_kind:     by_value
      - .offset:         24
        .size:           4
        .value_kind:     by_value
      - .address_space:  global
        .offset:         32
        .size:           8
        .value_kind:     global_buffer
      - .offset:         40
        .size:           4
        .value_kind:     hidden_block_count_x
      - .offset:         44
        .size:           4
        .value_kind:     hidden_block_count_y
      - .offset:         48
        .size:           4
        .value_kind:     hidden_block_count_z
      - .offset:         52
        .size:           2
        .value_kind:     hidden_group_size_x
      - .offset:         54
        .size:           2
        .value_kind:     hidden_group_size_y
      - .offset:         56
        .size:           2
        .value_kind:     hidden_group_size_z
      - .offset:         58
        .size:           2
        .value_kind:     hidden_remainder_x
      - .offset:         60
        .size:           2
        .value_kind:     hidden_remainder_y
      - .offset:         62
        .size:           2
        .value_kind:     hidden_remainder_z
      - .offset:         80
        .size:           8
        .value_kind:     hidden_global_offset_x
      - .offset:         88
        .size:           8
        .value_kind:     hidden_global_offset_y
      - .offset:         96
        .size:           8
        .value_kind:     hidden_global_offset_z
      - .offset:         104
        .size:           2
        .value_kind:     hidden_grid_dims
    .group_segment_fixed_size: 0
    .kernarg_segment_align: 8
    .kernarg_segment_size: 296
    .language:       OpenCL C
    .language_version:
      - 2
      - 0
    .max_flat_workgroup_size: 1024
    .name:           _Z36accumulate_remote_assignments_kernelPKfPKiiiiPf
    .private_segment_fixed_size: 0
    .sgpr_count:     18
    .sgpr_spill_count: 0
    .symbol:         _Z36accumulate_remote_assignments_kernelPKfPKiiiiPf.kd
    .uniform_work_group_size: 1
    .uses_dynamic_stack: false
    .vgpr_count:     8
    .vgpr_spill_count: 0
    .wavefront_size: 64
amdhsa.target:   amdgcn-amd-amdhsa--gfx90a
amdhsa.version:
  - 1
  - 2
...

	.end_amdgpu_metadata
